;; amdgpu-corpus repo=ROCm/rocFFT kind=compiled arch=gfx906 opt=O3
	.text
	.amdgcn_target "amdgcn-amd-amdhsa--gfx906"
	.amdhsa_code_object_version 6
	.protected	bluestein_single_back_len3072_dim1_sp_op_CI_CI ; -- Begin function bluestein_single_back_len3072_dim1_sp_op_CI_CI
	.globl	bluestein_single_back_len3072_dim1_sp_op_CI_CI
	.p2align	8
	.type	bluestein_single_back_len3072_dim1_sp_op_CI_CI,@function
bluestein_single_back_len3072_dim1_sp_op_CI_CI: ; @bluestein_single_back_len3072_dim1_sp_op_CI_CI
; %bb.0:
	s_load_dwordx4 s[16:19], s[4:5], 0x28
	s_mov_b32 s7, 0
	s_waitcnt lgkmcnt(0)
	v_mov_b32_e32 v1, s16
	v_mov_b32_e32 v2, s17
	v_cmp_lt_u64_e32 vcc, s[6:7], v[1:2]
	s_and_saveexec_b64 s[0:1], vcc
	s_cbranch_execz .LBB0_2
; %bb.1:
	s_load_dwordx4 s[0:3], s[4:5], 0x18
	s_load_dwordx4 s[8:11], s[4:5], 0x0
	v_mov_b32_e32 v72, s7
	v_mov_b32_e32 v71, s6
	;; [unrolled: 1-line block ×3, first 2 shown]
	s_waitcnt lgkmcnt(0)
	s_load_dwordx4 s[12:15], s[0:1], 0x0
	s_add_u32 s6, s8, 0x6000
	s_addc_u32 s7, s9, 0
	v_lshlrev_b32_e32 v110, 3, v0
	global_load_dwordx2 v[72:73], v110, s[8:9]
	s_waitcnt lgkmcnt(0)
	v_mad_u64_u32 v[1:2], s[0:1], s14, v71, 0
	v_mad_u64_u32 v[3:4], s[0:1], s12, v0, 0
	v_or_b32_e32 v29, 0x200, v0
	v_lshlrev_b32_e32 v119, 3, v29
	v_mad_u64_u32 v[5:6], s[0:1], s15, v71, v[2:3]
	v_mov_b32_e32 v111, 0xffffb800
	global_load_dwordx2 v[69:70], v119, s[8:9]
	v_mad_u64_u32 v[6:7], s[0:1], s13, v0, v[4:5]
	v_mov_b32_e32 v2, v5
	v_lshlrev_b64 v[1:2], 3, v[1:2]
	v_mov_b32_e32 v4, v6
	v_add_co_u32_e32 v5, vcc, s18, v1
	v_addc_co_u32_e32 v6, vcc, v8, v2, vcc
	v_lshlrev_b64 v[1:2], 3, v[3:4]
	s_lshl_b64 s[0:1], s[12:13], 12
	v_add_co_u32_e32 v1, vcc, v5, v1
	v_addc_co_u32_e32 v2, vcc, v6, v2, vcc
	global_load_dwordx2 v[3:4], v[1:2], off
	v_mov_b32_e32 v25, s1
	v_add_co_u32_e32 v1, vcc, s0, v1
	v_addc_co_u32_e32 v2, vcc, v2, v25, vcc
	global_load_dwordx2 v[5:6], v[1:2], off
	v_add_co_u32_e32 v1, vcc, s0, v1
	v_addc_co_u32_e32 v2, vcc, v2, v25, vcc
	global_load_dwordx2 v[7:8], v[1:2], off
	;; [unrolled: 3-line block ×4, first 2 shown]
	v_add_co_u32_e32 v1, vcc, s0, v1
	v_addc_co_u32_e32 v2, vcc, v2, v25, vcc
	v_or_b32_e32 v120, 0x2000, v110
	global_load_dwordx2 v[67:68], v120, s[8:9]
	global_load_dwordx2 v[13:14], v[1:2], off
	v_mad_u64_u32 v[1:2], s[14:15], s12, v111, v[1:2]
	v_or_b32_e32 v115, 0x3000, v110
	global_load_dwordx2 v[65:66], v115, s[8:9]
	v_or_b32_e32 v116, 0x4000, v110
	global_load_dwordx2 v[61:62], v116, s[8:9]
	s_mul_i32 s1, s13, 0xffffb800
	v_or_b32_e32 v118, 0x5000, v110
	global_load_dwordx2 v[63:64], v118, s[8:9]
	s_sub_i32 s1, s1, s12
	v_add_u32_e32 v2, s1, v2
	global_load_dwordx2 v[15:16], v[1:2], off
	global_load_dwordx2 v[59:60], v110, s[8:9] offset:2048
	v_add_co_u32_e32 v1, vcc, s0, v1
	v_addc_co_u32_e32 v2, vcc, v2, v25, vcc
	v_or_b32_e32 v128, 0x1800, v110
	global_load_dwordx2 v[17:18], v[1:2], off
	global_load_dwordx2 v[57:58], v128, s[8:9]
	v_add_co_u32_e32 v1, vcc, s0, v1
	v_addc_co_u32_e32 v2, vcc, v2, v25, vcc
	v_or_b32_e32 v127, 0x2800, v110
	global_load_dwordx2 v[55:56], v127, s[8:9]
	global_load_dwordx2 v[19:20], v[1:2], off
	v_add_co_u32_e32 v1, vcc, s0, v1
	v_addc_co_u32_e32 v2, vcc, v2, v25, vcc
	v_or_b32_e32 v125, 0x3800, v110
	global_load_dwordx2 v[21:22], v[1:2], off
	global_load_dwordx2 v[53:54], v125, s[8:9]
	v_add_co_u32_e32 v1, vcc, s0, v1
	v_addc_co_u32_e32 v2, vcc, v2, v25, vcc
	v_or_b32_e32 v126, 0x4800, v110
	global_load_dwordx2 v[51:52], v126, s[8:9]
	global_load_dwordx2 v[23:24], v[1:2], off
	v_add_co_u32_e32 v1, vcc, s0, v1
	v_addc_co_u32_e32 v2, vcc, v2, v25, vcc
	v_or_b32_e32 v129, 0x5800, v110
	global_load_dwordx2 v[1:2], v[1:2], off
	s_load_dwordx4 s[0:3], s[2:3], 0x0
	global_load_dwordx2 v[49:50], v129, s[8:9]
	v_or_b32_e32 v98, 0x100, v0
	v_mul_u32_u24_e32 v43, 0x2aab, v98
	v_mov_b32_e32 v100, s11
	s_waitcnt vmcnt(21)
	v_mul_f32_e32 v25, v4, v73
	v_fmac_f32_e32 v25, v3, v72
	v_mul_f32_e32 v3, v3, v73
	v_fma_f32 v26, v4, v72, -v3
	v_mul_u32_u24_e32 v45, 0x2aab, v29
	v_mul_u32_u24_e32 v101, 0xaab, v29
	s_waitcnt vmcnt(20)
	v_mul_f32_e32 v3, v6, v70
	v_mul_f32_e32 v4, v5, v70
	v_fmac_f32_e32 v3, v5, v69
	v_fma_f32 v4, v6, v69, -v4
	s_movk_i32 s12, 0x60
	s_load_dwordx2 s[4:5], s[4:5], 0x38
	s_waitcnt vmcnt(16)
	v_mul_f32_e32 v5, v8, v68
	v_mul_f32_e32 v6, v7, v68
	v_fmac_f32_e32 v5, v7, v67
	v_fma_f32 v6, v8, v67, -v6
	s_waitcnt vmcnt(14)
	v_mul_f32_e32 v7, v10, v66
	v_mul_f32_e32 v8, v9, v66
	v_fmac_f32_e32 v7, v9, v65
	v_fma_f32 v8, v10, v65, -v8
	;; [unrolled: 5-line block ×5, first 2 shown]
	ds_write2st64_b64 v110, v[25:26], v[13:14] offset1:4
	s_waitcnt vmcnt(8)
	v_mul_f32_e32 v13, v18, v58
	v_mul_f32_e32 v14, v17, v58
	v_fmac_f32_e32 v13, v17, v57
	v_fma_f32 v14, v18, v57, -v14
	ds_write2st64_b64 v110, v[3:4], v[13:14] offset0:8 offset1:12
	s_waitcnt vmcnt(6)
	v_mul_f32_e32 v3, v20, v56
	v_mul_f32_e32 v4, v19, v56
	v_fmac_f32_e32 v3, v19, v55
	v_fma_f32 v4, v20, v55, -v4
	ds_write2st64_b64 v110, v[5:6], v[3:4] offset0:16 offset1:20
	;; [unrolled: 6-line block ×4, first 2 shown]
	s_waitcnt vmcnt(0)
	v_mul_f32_e32 v3, v2, v50
	v_fmac_f32_e32 v3, v1, v49
	v_mul_f32_e32 v1, v1, v50
	v_fma_f32 v4, v2, v49, -v1
	ds_write2st64_b64 v110, v[11:12], v[3:4] offset0:40 offset1:44
	s_waitcnt lgkmcnt(0)
	s_barrier
	ds_read2st64_b64 v[1:4], v110 offset1:4
	ds_read2st64_b64 v[5:8], v110 offset0:16 offset1:20
	ds_read2st64_b64 v[9:12], v110 offset0:32 offset1:36
	;; [unrolled: 1-line block ×5, first 2 shown]
	s_waitcnt lgkmcnt(4)
	v_add_f32_e32 v25, v1, v5
	s_waitcnt lgkmcnt(3)
	v_add_f32_e32 v32, v25, v9
	v_add_f32_e32 v25, v5, v9
	v_fma_f32 v1, -0.5, v25, v1
	v_sub_f32_e32 v25, v6, v10
	v_mov_b32_e32 v33, v1
	v_fmac_f32_e32 v33, 0x3f5db3d7, v25
	v_fmac_f32_e32 v1, 0xbf5db3d7, v25
	v_add_f32_e32 v25, v2, v6
	v_add_f32_e32 v6, v6, v10
	v_fma_f32 v2, -0.5, v6, v2
	v_sub_f32_e32 v5, v5, v9
	s_waitcnt lgkmcnt(0)
	v_add_f32_e32 v9, v17, v21
	v_mov_b32_e32 v6, v2
	v_fma_f32 v9, -0.5, v9, v13
	v_add_f32_e32 v35, v25, v10
	v_fmac_f32_e32 v6, 0xbf5db3d7, v5
	v_fmac_f32_e32 v2, 0x3f5db3d7, v5
	v_add_f32_e32 v5, v13, v17
	v_sub_f32_e32 v10, v18, v22
	v_mov_b32_e32 v13, v9
	v_fmac_f32_e32 v13, 0x3f5db3d7, v10
	v_fmac_f32_e32 v9, 0xbf5db3d7, v10
	v_add_f32_e32 v10, v14, v18
	v_add_f32_e32 v18, v18, v22
	v_fma_f32 v14, -0.5, v18, v14
	v_sub_f32_e32 v17, v17, v21
	v_add_f32_e32 v5, v5, v21
	v_mov_b32_e32 v18, v14
	v_fmac_f32_e32 v14, 0x3f5db3d7, v17
	v_mul_f32_e32 v21, -0.5, v9
	v_fmac_f32_e32 v18, 0xbf5db3d7, v17
	v_fmac_f32_e32 v21, 0x3f5db3d7, v14
	v_mul_f32_e32 v14, -0.5, v14
	v_mul_f32_e32 v17, 0x3f5db3d7, v18
	v_fmac_f32_e32 v14, 0xbf5db3d7, v9
	v_fmac_f32_e32 v17, 0.5, v13
	v_mul_f32_e32 v13, 0xbf5db3d7, v13
	v_add_f32_e32 v31, v2, v14
	v_sub_f32_e32 v37, v2, v14
	v_add_f32_e32 v2, v7, v11
	v_add_f32_e32 v10, v10, v22
	v_fmac_f32_e32 v13, 0.5, v18
	v_fma_f32 v2, -0.5, v2, v3
	v_add_f32_e32 v25, v32, v5
	v_add_f32_e32 v27, v33, v17
	;; [unrolled: 1-line block ×5, first 2 shown]
	v_sub_f32_e32 v32, v32, v5
	v_sub_f32_e32 v34, v33, v17
	;; [unrolled: 1-line block ×5, first 2 shown]
	v_add_f32_e32 v1, v3, v7
	v_sub_f32_e32 v3, v8, v12
	v_mov_b32_e32 v13, v2
	v_add_f32_e32 v5, v19, v23
	v_fmac_f32_e32 v13, 0x3f5db3d7, v3
	v_fmac_f32_e32 v2, 0xbf5db3d7, v3
	v_add_f32_e32 v3, v4, v8
	v_fma_f32 v10, -0.5, v5, v15
	v_add_f32_e32 v14, v3, v12
	v_add_f32_e32 v3, v8, v12
	v_sub_f32_e32 v5, v20, v24
	v_mov_b32_e32 v8, v10
	v_fmac_f32_e32 v8, 0x3f5db3d7, v5
	v_fmac_f32_e32 v10, 0xbf5db3d7, v5
	v_add_f32_e32 v5, v16, v20
	v_add_f32_e32 v12, v5, v24
	;; [unrolled: 1-line block ×3, first 2 shown]
	v_fmac_f32_e32 v16, -0.5, v5
	v_add_f32_e32 v1, v1, v11
	v_fmac_f32_e32 v4, -0.5, v3
	v_sub_f32_e32 v3, v7, v11
	v_sub_f32_e32 v5, v19, v23
	v_mov_b32_e32 v11, v16
	v_mov_b32_e32 v17, v4
	v_fmac_f32_e32 v11, 0xbf5db3d7, v5
	v_fmac_f32_e32 v17, 0xbf5db3d7, v3
	;; [unrolled: 1-line block ×3, first 2 shown]
	v_add_f32_e32 v3, v15, v19
	v_mul_f32_e32 v15, 0x3f5db3d7, v11
	v_add_f32_e32 v3, v3, v23
	v_fmac_f32_e32 v15, 0.5, v8
	v_mul_f32_e32 v19, 0xbf5db3d7, v8
	v_fmac_f32_e32 v16, 0x3f5db3d7, v5
	v_add_f32_e32 v5, v1, v3
	v_add_f32_e32 v7, v13, v15
	v_fmac_f32_e32 v19, 0.5, v11
	v_sub_f32_e32 v11, v1, v3
	v_sub_f32_e32 v1, v13, v15
	v_mul_u32_u24_e32 v13, 6, v0
	v_mul_f32_e32 v18, -0.5, v10
	v_lshlrev_b32_e32 v124, 3, v13
	v_fmac_f32_e32 v18, 0x3f5db3d7, v16
	v_mul_f32_e32 v16, -0.5, v16
	s_barrier
	ds_write_b128 v124, v[25:28]
	ds_write_b128 v124, v[30:33] offset:16
	ds_write_b128 v124, v[34:37] offset:32
	v_mul_u32_u24_e32 v13, 6, v98
	v_mul_lo_u16_e32 v25, 0xab, v0
	v_add_f32_e32 v6, v14, v12
	v_add_f32_e32 v8, v17, v19
	v_fmac_f32_e32 v16, 0xbf5db3d7, v10
	v_lshlrev_b32_e32 v114, 3, v13
	v_lshrrev_b16_e32 v28, 10, v25
	v_add_f32_e32 v9, v2, v18
	v_add_f32_e32 v10, v4, v16
	v_sub_f32_e32 v3, v2, v18
	v_sub_f32_e32 v12, v14, v12
	;; [unrolled: 1-line block ×4, first 2 shown]
	ds_write_b128 v114, v[5:8]
	ds_write_b128 v114, v[9:12] offset:16
	ds_write_b128 v114, v[1:4] offset:32
	v_mul_lo_u16_e32 v1, 6, v28
	v_sub_u16_e32 v1, v0, v1
	v_and_b32_e32 v42, 0xff, v1
	v_mad_u64_u32 v[1:2], s[8:9], v42, 24, s[10:11]
	v_mov_b32_e32 v3, 6
	s_waitcnt lgkmcnt(0)
	s_barrier
	global_load_dwordx4 v[5:8], v[1:2], off
	global_load_dwordx2 v[80:81], v[1:2], off offset:16
	v_mul_lo_u16_sdwa v1, v43, v3 dst_sel:DWORD dst_unused:UNUSED_PAD src0_sel:WORD_1 src1_sel:DWORD
	v_sub_u16_e32 v44, v98, v1
	v_mul_lo_u16_e32 v1, 24, v44
	v_add_co_u32_e32 v1, vcc, s10, v1
	v_addc_co_u32_e32 v2, vcc, 0, v100, vcc
	global_load_dwordx4 v[9:12], v[1:2], off
	global_load_dwordx2 v[82:83], v[1:2], off offset:16
	v_mul_lo_u16_sdwa v1, v45, v3 dst_sel:DWORD dst_unused:UNUSED_PAD src0_sel:WORD_1 src1_sel:DWORD
	v_sub_u16_e32 v46, v29, v1
	v_mul_lo_u16_e32 v1, 24, v46
	v_add_co_u32_e32 v1, vcc, s10, v1
	v_addc_co_u32_e32 v2, vcc, 0, v100, vcc
	global_load_dwordx4 v[21:24], v[1:2], off
	global_load_dwordx2 v[84:85], v[1:2], off offset:16
	ds_read2st64_b64 v[1:4], v110 offset1:4
	ds_read2st64_b64 v[13:16], v110 offset0:8 offset1:12
	ds_read2st64_b64 v[17:20], v110 offset0:24 offset1:28
	;; [unrolled: 1-line block ×5, first 2 shown]
	v_mul_u32_u24_e32 v28, 24, v28
	v_or_b32_e32 v28, v28, v42
	v_lshlrev_b32_e32 v117, 3, v28
	s_waitcnt vmcnt(0) lgkmcnt(0)
	s_barrier
	v_lshrrev_b16_e32 v28, 12, v25
	v_mul_f32_e32 v26, v16, v6
	v_fma_f32 v26, v15, v5, -v26
	v_mul_f32_e32 v15, v15, v6
	v_fmac_f32_e32 v15, v16, v5
	v_mul_f32_e32 v16, v18, v8
	v_fma_f32 v16, v17, v7, -v16
	v_mul_f32_e32 v17, v17, v8
	v_fmac_f32_e32 v17, v18, v7
	v_mul_f32_e32 v18, v33, v81
	v_fma_f32 v18, v32, v80, -v18
	v_mul_f32_e32 v27, v32, v81
	v_mul_f32_e32 v32, v35, v10
	v_fmac_f32_e32 v27, v33, v80
	v_fma_f32 v32, v34, v9, -v32
	v_mul_f32_e32 v33, v34, v10
	v_mul_f32_e32 v34, v20, v12
	v_fmac_f32_e32 v33, v35, v9
	v_fma_f32 v34, v19, v11, -v34
	v_mul_f32_e32 v35, v19, v12
	v_mul_f32_e32 v19, v39, v83
	v_fma_f32 v47, v38, v82, -v19
	v_mul_f32_e32 v38, v38, v83
	v_mul_f32_e32 v19, v37, v22
	v_fmac_f32_e32 v38, v39, v82
	v_fma_f32 v39, v36, v21, -v19
	v_mul_f32_e32 v36, v36, v22
	v_mul_f32_e32 v19, v31, v24
	v_fmac_f32_e32 v36, v37, v21
	v_fma_f32 v37, v30, v23, -v19
	v_mul_f32_e32 v19, v41, v85
	v_fmac_f32_e32 v35, v20, v11
	v_fma_f32 v74, v40, v84, -v19
	v_sub_f32_e32 v19, v1, v16
	v_sub_f32_e32 v20, v2, v17
	v_sub_f32_e32 v18, v26, v18
	v_sub_f32_e32 v27, v15, v27
	v_fma_f32 v16, v1, 2.0, -v19
	v_fma_f32 v17, v2, 2.0, -v20
	;; [unrolled: 1-line block ×4, first 2 shown]
	v_sub_f32_e32 v1, v16, v1
	v_sub_f32_e32 v2, v17, v2
	v_mul_f32_e32 v48, v30, v24
	v_mul_f32_e32 v40, v40, v85
	v_fma_f32 v15, v16, 2.0, -v1
	v_fma_f32 v16, v17, 2.0, -v2
	v_sub_f32_e32 v17, v19, v27
	v_add_f32_e32 v18, v20, v18
	v_fmac_f32_e32 v48, v31, v23
	v_fmac_f32_e32 v40, v41, v84
	v_fma_f32 v19, v19, 2.0, -v17
	v_fma_f32 v20, v20, 2.0, -v18
	v_sub_f32_e32 v34, v3, v34
	v_sub_f32_e32 v35, v4, v35
	;; [unrolled: 1-line block ×3, first 2 shown]
	v_fma_f32 v26, v3, 2.0, -v34
	v_sub_f32_e32 v30, v33, v38
	v_fma_f32 v3, v32, 2.0, -v31
	v_add_f32_e32 v31, v35, v31
	v_sub_f32_e32 v37, v13, v37
	v_sub_f32_e32 v41, v14, v48
	;; [unrolled: 1-line block ×3, first 2 shown]
	ds_write2_b64 v117, v[15:16], v[19:20] offset1:6
	ds_write2_b64 v117, v[1:2], v[17:18] offset0:12 offset1:18
	v_mov_b32_e32 v17, 24
	v_fma_f32 v27, v4, 2.0, -v35
	v_fma_f32 v4, v33, 2.0, -v30
	v_sub_f32_e32 v30, v34, v30
	v_fma_f32 v33, v35, 2.0, -v31
	v_fma_f32 v35, v14, 2.0, -v41
	;; [unrolled: 1-line block ×3, first 2 shown]
	v_sub_f32_e32 v38, v37, v38
	v_mul_lo_u16_sdwa v1, v43, v17 dst_sel:DWORD dst_unused:UNUSED_PAD src0_sel:WORD_1 src1_sel:DWORD
	v_fma_f32 v32, v34, 2.0, -v30
	v_fma_f32 v34, v13, 2.0, -v37
	;; [unrolled: 1-line block ×3, first 2 shown]
	v_or_b32_e32 v1, v1, v44
	v_mov_b32_e32 v37, 3
	v_lshlrev_b32_sdwa v113, v37, v1 dst_sel:DWORD dst_unused:UNUSED_PAD src0_sel:DWORD src1_sel:WORD_0
	v_mul_lo_u16_sdwa v1, v45, v17 dst_sel:DWORD dst_unused:UNUSED_PAD src0_sel:WORD_1 src1_sel:DWORD
	v_sub_f32_e32 v47, v39, v74
	v_or_b32_e32 v1, v1, v46
	v_fma_f32 v13, v39, 2.0, -v47
	v_lshlrev_b32_sdwa v112, v37, v1 dst_sel:DWORD dst_unused:UNUSED_PAD src0_sel:DWORD src1_sel:WORD_0
	v_mul_lo_u16_e32 v1, 24, v28
	v_sub_f32_e32 v3, v26, v3
	v_sub_f32_e32 v4, v27, v4
	;; [unrolled: 1-line block ×4, first 2 shown]
	v_add_f32_e32 v39, v41, v47
	v_sub_u16_e32 v1, v0, v1
	v_fma_f32 v26, v26, 2.0, -v3
	v_fma_f32 v27, v27, 2.0, -v4
	;; [unrolled: 1-line block ×5, first 2 shown]
	v_and_b32_e32 v36, 0xff, v1
	ds_write2_b64 v113, v[26:27], v[32:33] offset1:6
	ds_write2_b64 v113, v[3:4], v[30:31] offset0:12 offset1:18
	ds_write2_b64 v112, v[34:35], v[40:41] offset1:6
	ds_write2_b64 v112, v[13:14], v[38:39] offset0:12 offset1:18
	v_mad_u64_u32 v[13:14], s[8:9], v36, 24, s[10:11]
	v_mul_u32_u24_e32 v48, 0xaab, v98
	s_waitcnt lgkmcnt(0)
	s_barrier
	global_load_dwordx4 v[1:4], v[13:14], off offset:144
	global_load_dwordx2 v[74:75], v[13:14], off offset:160
	v_mul_lo_u16_sdwa v13, v48, v17 dst_sel:DWORD dst_unused:UNUSED_PAD src0_sel:WORD_1 src1_sel:DWORD
	v_sub_u16_e32 v99, v98, v13
	v_mul_lo_u16_e32 v13, 24, v99
	v_mul_lo_u16_sdwa v17, v101, v17 dst_sel:DWORD dst_unused:UNUSED_PAD src0_sel:WORD_1 src1_sel:DWORD
	v_add_co_u32_e32 v26, vcc, s10, v13
	v_sub_u16_e32 v102, v29, v17
	v_addc_co_u32_e32 v27, vcc, 0, v100, vcc
	v_mul_lo_u16_e32 v17, 24, v102
	global_load_dwordx4 v[13:16], v[26:27], off offset:144
	v_add_co_u32_e32 v30, vcc, s10, v17
	v_addc_co_u32_e32 v31, vcc, 0, v100, vcc
	global_load_dwordx4 v[17:20], v[30:31], off offset:144
	global_load_dwordx2 v[78:79], v[26:27], off offset:160
	global_load_dwordx2 v[76:77], v[30:31], off offset:160
	ds_read2st64_b64 v[30:33], v110 offset1:4
	ds_read2st64_b64 v[38:41], v110 offset0:8 offset1:12
	ds_read2st64_b64 v[42:45], v110 offset0:24 offset1:28
	;; [unrolled: 1-line block ×5, first 2 shown]
	v_mul_u32_u24_e32 v28, 0x60, v28
	v_or_b32_e32 v28, v28, v36
	v_lshlrev_b32_e32 v121, 3, v28
	s_waitcnt vmcnt(0) lgkmcnt(0)
	s_barrier
	v_mul_f32_e32 v26, v41, v2
	v_mul_f32_e32 v27, v40, v2
	v_fma_f32 v26, v40, v1, -v26
	v_fmac_f32_e32 v27, v41, v1
	v_mul_f32_e32 v34, v43, v4
	v_mul_f32_e32 v35, v42, v4
	;; [unrolled: 1-line block ×4, first 2 shown]
	v_fma_f32 v34, v42, v3, -v34
	v_fmac_f32_e32 v35, v43, v3
	v_fma_f32 v40, v88, v74, -v40
	v_fmac_f32_e32 v41, v89, v74
	v_mul_f32_e32 v42, v45, v16
	v_fma_f32 v42, v44, v15, -v42
	v_mul_f32_e32 v43, v44, v16
	v_mul_f32_e32 v46, v93, v18
	;; [unrolled: 1-line block ×4, first 2 shown]
	v_fma_f32 v88, v92, v17, -v46
	v_fmac_f32_e32 v89, v93, v17
	v_sub_f32_e32 v92, v30, v34
	v_sub_f32_e32 v93, v31, v35
	;; [unrolled: 1-line block ×4, first 2 shown]
	v_fmac_f32_e32 v43, v45, v15
	v_fma_f32 v44, v90, v13, -v44
	v_mul_f32_e32 v45, v90, v14
	v_mul_f32_e32 v46, v95, v79
	;; [unrolled: 1-line block ×4, first 2 shown]
	v_fma_f32 v30, v30, 2.0, -v92
	v_fma_f32 v31, v31, 2.0, -v93
	;; [unrolled: 1-line block ×4, first 2 shown]
	v_fmac_f32_e32 v45, v91, v13
	v_fma_f32 v46, v94, v78, -v46
	v_fmac_f32_e32 v47, v95, v78
	v_fma_f32 v90, v86, v19, -v90
	v_mul_f32_e32 v86, v86, v20
	v_sub_f32_e32 v26, v30, v26
	v_sub_f32_e32 v27, v31, v27
	v_sub_f32_e32 v34, v92, v34
	v_add_f32_e32 v35, v93, v35
	v_fmac_f32_e32 v86, v87, v19
	v_mul_f32_e32 v87, v97, v77
	v_mul_f32_e32 v91, v96, v77
	v_fma_f32 v30, v30, 2.0, -v26
	v_fma_f32 v31, v31, 2.0, -v27
	;; [unrolled: 1-line block ×4, first 2 shown]
	v_sub_f32_e32 v92, v32, v42
	v_sub_f32_e32 v46, v44, v46
	;; [unrolled: 1-line block ×3, first 2 shown]
	v_fma_f32 v87, v96, v76, -v87
	v_fmac_f32_e32 v91, v97, v76
	v_sub_f32_e32 v93, v33, v43
	v_fma_f32 v42, v32, 2.0, -v92
	v_fma_f32 v32, v44, 2.0, -v46
	v_sub_f32_e32 v44, v92, v47
	ds_write2_b64 v121, v[30:31], v[40:41] offset1:24
	ds_write2_b64 v121, v[26:27], v[34:35] offset0:48 offset1:72
	v_mul_lo_u16_sdwa v26, v48, s12 dst_sel:DWORD dst_unused:UNUSED_PAD src0_sel:WORD_1 src1_sel:DWORD
	v_fma_f32 v43, v33, 2.0, -v93
	v_fma_f32 v33, v45, 2.0, -v47
	v_add_f32_e32 v45, v93, v46
	v_fma_f32 v46, v92, 2.0, -v44
	v_sub_f32_e32 v90, v38, v90
	v_sub_f32_e32 v92, v39, v86
	;; [unrolled: 1-line block ×4, first 2 shown]
	v_or_b32_e32 v26, v26, v99
	v_lshrrev_b16_e32 v48, 14, v25
	v_fma_f32 v47, v93, 2.0, -v45
	v_fma_f32 v86, v38, 2.0, -v90
	;; [unrolled: 1-line block ×5, first 2 shown]
	v_lshlrev_b32_sdwa v122, v37, v26 dst_sel:DWORD dst_unused:UNUSED_PAD src0_sel:DWORD src1_sel:WORD_0
	v_mul_lo_u16_sdwa v26, v101, s12 dst_sel:DWORD dst_unused:UNUSED_PAD src0_sel:WORD_1 src1_sel:DWORD
	v_mul_lo_u16_e32 v25, 0x60, v48
	v_sub_f32_e32 v32, v42, v32
	v_sub_f32_e32 v33, v43, v33
	;; [unrolled: 1-line block ×5, first 2 shown]
	v_add_f32_e32 v89, v92, v94
	v_or_b32_e32 v26, v26, v102
	v_sub_u16_e32 v25, v0, v25
	v_fma_f32 v42, v42, 2.0, -v32
	v_fma_f32 v43, v43, 2.0, -v33
	v_fma_f32 v86, v86, 2.0, -v38
	v_fma_f32 v87, v93, 2.0, -v39
	v_fma_f32 v90, v90, 2.0, -v88
	v_fma_f32 v91, v92, 2.0, -v89
	v_lshlrev_b32_sdwa v123, v37, v26 dst_sel:DWORD dst_unused:UNUSED_PAD src0_sel:DWORD src1_sel:WORD_0
	v_and_b32_e32 v94, 0xff, v25
	v_mul_u32_u24_e32 v95, 0x2ab, v98
	ds_write2_b64 v122, v[42:43], v[46:47] offset1:24
	ds_write2_b64 v122, v[32:33], v[44:45] offset0:48 offset1:72
	ds_write2_b64 v123, v[86:87], v[90:91] offset1:24
	ds_write2_b64 v123, v[38:39], v[88:89] offset0:48 offset1:72
	v_mad_u64_u32 v[38:39], s[8:9], v94, 24, s[10:11]
	v_mul_lo_u16_sdwa v30, v95, s12 dst_sel:DWORD dst_unused:UNUSED_PAD src0_sel:WORD_1 src1_sel:DWORD
	v_sub_u16_e32 v96, v98, v30
	v_mul_lo_u16_e32 v30, 24, v96
	v_add_co_u32_e32 v40, vcc, s10, v30
	s_waitcnt lgkmcnt(0)
	s_barrier
	global_load_dwordx4 v[25:28], v[38:39], off offset:720
	v_addc_co_u32_e32 v41, vcc, 0, v100, vcc
	global_load_dwordx4 v[33:36], v[40:41], off offset:720
	v_mul_u32_u24_e32 v97, 0x2ab, v29
	v_mul_lo_u16_sdwa v30, v97, s12 dst_sel:DWORD dst_unused:UNUSED_PAD src0_sel:WORD_1 src1_sel:DWORD
	v_sub_u16_e32 v99, v29, v30
	v_mul_lo_u16_e32 v29, 24, v99
	v_add_co_u32_e32 v42, vcc, s10, v29
	v_addc_co_u32_e32 v43, vcc, 0, v100, vcc
	global_load_dwordx4 v[29:32], v[42:43], off offset:720
	global_load_dwordx2 v[86:87], v[38:39], off offset:736
	global_load_dwordx2 v[90:91], v[40:41], off offset:736
	global_load_dwordx2 v[88:89], v[42:43], off offset:736
	ds_read2st64_b64 v[38:41], v110 offset0:24 offset1:28
	ds_read2st64_b64 v[42:45], v110 offset0:16 offset1:20
	v_mul_u32_u24_e32 v48, 0x180, v48
	v_or_b32_e32 v48, v48, v94
	s_movk_i32 s8, 0x180
	s_waitcnt vmcnt(5) lgkmcnt(1)
	v_mul_f32_e32 v46, v39, v28
	v_fma_f32 v46, v38, v27, -v46
	v_mul_f32_e32 v47, v38, v28
	s_waitcnt vmcnt(4) lgkmcnt(0)
	v_mul_f32_e32 v38, v43, v34
	v_fma_f32 v101, v42, v33, -v38
	v_mul_f32_e32 v38, v41, v36
	v_mul_f32_e32 v103, v40, v36
	v_fmac_f32_e32 v47, v39, v27
	v_fma_f32 v102, v40, v35, -v38
	v_fmac_f32_e32 v103, v41, v35
	ds_read2st64_b64 v[38:41], v110 offset0:32 offset1:36
	v_mul_f32_e32 v104, v42, v34
	s_waitcnt vmcnt(3)
	v_mul_f32_e32 v42, v45, v30
	v_fma_f32 v105, v44, v29, -v42
	v_fmac_f32_e32 v104, v43, v33
	s_waitcnt vmcnt(2) lgkmcnt(0)
	v_mul_f32_e32 v42, v41, v87
	v_mul_f32_e32 v93, v40, v87
	v_fma_f32 v92, v40, v86, -v42
	v_fmac_f32_e32 v93, v41, v86
	ds_read2st64_b64 v[40:43], v110 offset0:40 offset1:44
	v_mul_f32_e32 v106, v44, v30
	v_mul_f32_e32 v44, v39, v32
	v_fma_f32 v107, v38, v31, -v44
	v_mul_f32_e32 v108, v38, v32
	s_waitcnt vmcnt(1) lgkmcnt(0)
	v_mul_f32_e32 v38, v41, v91
	v_mul_f32_e32 v132, v40, v91
	v_fmac_f32_e32 v108, v39, v31
	v_fma_f32 v109, v40, v90, -v38
	v_fmac_f32_e32 v132, v41, v90
	ds_read2st64_b64 v[38:41], v110 offset0:8 offset1:12
	s_waitcnt vmcnt(0)
	v_mul_f32_e32 v44, v43, v89
	v_mul_f32_e32 v134, v42, v89
	v_fmac_f32_e32 v106, v45, v29
	v_fma_f32 v133, v42, v88, -v44
	v_fmac_f32_e32 v134, v43, v88
	ds_read2st64_b64 v[42:45], v110 offset1:4
	s_waitcnt lgkmcnt(1)
	v_mul_f32_e32 v130, v41, v26
	v_fma_f32 v130, v40, v25, -v130
	v_mul_f32_e32 v40, v40, v26
	v_fmac_f32_e32 v40, v41, v25
	s_waitcnt lgkmcnt(0)
	v_sub_f32_e32 v131, v42, v46
	v_sub_f32_e32 v135, v43, v47
	;; [unrolled: 1-line block ×4, first 2 shown]
	v_fma_f32 v41, v130, 2.0, -v47
	v_fma_f32 v92, v40, 2.0, -v46
	;; [unrolled: 1-line block ×4, first 2 shown]
	v_sub_f32_e32 v46, v131, v46
	v_lshlrev_b32_e32 v130, 3, v48
	v_sub_f32_e32 v40, v42, v41
	v_sub_f32_e32 v41, v43, v92
	v_add_f32_e32 v47, v135, v47
	v_fma_f32 v92, v131, 2.0, -v46
	v_add_u32_e32 v131, 0x400, v130
	v_fma_f32 v42, v42, 2.0, -v40
	v_fma_f32 v43, v43, 2.0, -v41
	;; [unrolled: 1-line block ×3, first 2 shown]
	s_barrier
	ds_write2_b64 v131, v[40:41], v[46:47] offset0:64 offset1:160
	v_sub_f32_e32 v46, v44, v102
	v_sub_f32_e32 v47, v45, v103
	ds_write2_b64 v130, v[42:43], v[92:93] offset1:96
	v_fma_f32 v42, v44, 2.0, -v46
	v_fma_f32 v43, v45, 2.0, -v47
	v_sub_f32_e32 v45, v101, v109
	v_sub_f32_e32 v44, v104, v132
	v_fma_f32 v40, v101, 2.0, -v45
	v_fma_f32 v41, v104, 2.0, -v44
	v_mul_lo_u16_sdwa v48, v95, s8 dst_sel:DWORD dst_unused:UNUSED_PAD src0_sel:WORD_1 src1_sel:DWORD
	v_sub_f32_e32 v40, v42, v40
	v_sub_f32_e32 v41, v43, v41
	;; [unrolled: 1-line block ×3, first 2 shown]
	v_add_f32_e32 v45, v47, v45
	v_or_b32_e32 v48, v48, v96
	v_fma_f32 v42, v42, 2.0, -v40
	v_fma_f32 v43, v43, 2.0, -v41
	;; [unrolled: 1-line block ×4, first 2 shown]
	v_lshlrev_b32_sdwa v132, v37, v48 dst_sel:DWORD dst_unused:UNUSED_PAD src0_sel:DWORD src1_sel:WORD_0
	ds_write2_b64 v132, v[42:43], v[46:47] offset1:96
	v_sub_f32_e32 v48, v38, v107
	v_sub_f32_e32 v93, v39, v108
	;; [unrolled: 1-line block ×4, first 2 shown]
	v_add_u32_e32 v133, 0x400, v132
	v_fma_f32 v42, v38, 2.0, -v48
	v_fma_f32 v43, v39, 2.0, -v93
	;; [unrolled: 1-line block ×4, first 2 shown]
	ds_write2_b64 v133, v[40:41], v[44:45] offset0:64 offset1:160
	v_mul_lo_u16_sdwa v40, v97, s8 dst_sel:DWORD dst_unused:UNUSED_PAD src0_sel:WORD_1 src1_sel:DWORD
	v_sub_f32_e32 v38, v42, v38
	v_sub_f32_e32 v39, v43, v39
	;; [unrolled: 1-line block ×3, first 2 shown]
	v_add_f32_e32 v47, v93, v47
	v_or_b32_e32 v40, v40, v99
	v_fma_f32 v42, v42, 2.0, -v38
	v_fma_f32 v43, v43, 2.0, -v39
	;; [unrolled: 1-line block ×4, first 2 shown]
	v_lshlrev_b32_sdwa v134, v37, v40 dst_sel:DWORD dst_unused:UNUSED_PAD src0_sel:DWORD src1_sel:WORD_0
	ds_write2_b64 v134, v[42:43], v[92:93] offset1:96
	v_mad_u64_u32 v[92:93], s[8:9], v0, 24, s[10:11]
	v_mov_b32_e32 v99, 0
	s_mov_b64 s[8:9], 0x180
	v_add_u32_e32 v135, 0x400, v134
	v_cmp_gt_u64_e32 vcc, s[8:9], v[98:99]
	ds_write2_b64 v135, v[38:39], v[46:47] offset0:64 offset1:160
	s_waitcnt lgkmcnt(0)
	s_barrier
	global_load_dwordx4 v[37:40], v[92:93], off offset:3024
	v_add_u32_e32 v41, 0xffffff80, v0
	v_cndmask_b32_e32 v109, v41, v98, vcc
	v_mul_i32_i24_e32 v42, 24, v109
	v_mul_hi_i32_i24_e32 v41, 24, v109
	v_add_co_u32_e32 v96, vcc, s10, v42
	v_addc_co_u32_e32 v97, vcc, v100, v41, vcc
	global_load_dwordx4 v[41:44], v[96:97], off offset:3024
	s_movk_i32 s8, 0x1000
	v_add_co_u32_e32 v45, vcc, s8, v92
	v_addc_co_u32_e32 v46, vcc, 0, v93, vcc
	global_load_dwordx4 v[45:48], v[45:46], off offset:2000
	s_nop 0
	global_load_dwordx2 v[94:95], v[92:93], off offset:3040
	s_movk_i32 s8, 0x17d0
	global_load_dwordx2 v[96:97], v[96:97], off offset:3040
	v_add_co_u32_e32 v92, vcc, s8, v92
	v_addc_co_u32_e32 v93, vcc, 0, v93, vcc
	global_load_dwordx2 v[92:93], v[92:93], off offset:16
	ds_read2st64_b64 v[101:104], v110 offset0:24 offset1:28
	s_mov_b64 s[8:9], 0x17f
	v_cmp_lt_u64_e32 vcc, s[8:9], v[98:99]
	s_movk_i32 s8, 0x2000
	s_movk_i32 s9, 0x3000
	s_waitcnt vmcnt(5) lgkmcnt(0)
	v_mul_f32_e32 v105, v102, v40
	v_fma_f32 v136, v101, v39, -v105
	ds_read2st64_b64 v[105:108], v110 offset0:16 offset1:20
	v_mul_f32_e32 v137, v101, v40
	v_fmac_f32_e32 v137, v102, v39
	s_waitcnt vmcnt(4)
	v_mul_f32_e32 v101, v104, v44
	v_fma_f32 v140, v103, v43, -v101
	v_mul_f32_e32 v141, v103, v44
	s_waitcnt lgkmcnt(0)
	v_mul_f32_e32 v101, v106, v42
	v_fmac_f32_e32 v141, v104, v43
	v_fma_f32 v142, v105, v41, -v101
	ds_read2st64_b64 v[101:104], v110 offset0:32 offset1:36
	v_mul_f32_e32 v143, v105, v42
	s_waitcnt vmcnt(3)
	v_mul_f32_e32 v105, v108, v46
	v_fma_f32 v144, v107, v45, -v105
	v_fmac_f32_e32 v143, v106, v41
	s_waitcnt vmcnt(2) lgkmcnt(0)
	v_mul_f32_e32 v105, v104, v95
	v_mul_f32_e32 v139, v103, v95
	v_fma_f32 v138, v103, v94, -v105
	v_fmac_f32_e32 v139, v104, v94
	ds_read2st64_b64 v[103:106], v110 offset0:40 offset1:44
	v_mul_f32_e32 v145, v107, v46
	v_mul_f32_e32 v107, v102, v48
	v_fma_f32 v146, v101, v47, -v107
	v_mul_f32_e32 v147, v101, v48
	s_waitcnt vmcnt(1) lgkmcnt(0)
	v_mul_f32_e32 v101, v104, v97
	v_mul_f32_e32 v149, v103, v97
	v_fmac_f32_e32 v147, v102, v47
	v_fma_f32 v148, v103, v96, -v101
	v_fmac_f32_e32 v149, v104, v96
	ds_read2st64_b64 v[101:104], v110 offset0:8 offset1:12
	s_waitcnt vmcnt(0)
	v_mul_f32_e32 v107, v106, v93
	v_mul_f32_e32 v151, v105, v93
	v_fmac_f32_e32 v145, v108, v45
	v_fma_f32 v150, v105, v92, -v107
	v_fmac_f32_e32 v151, v106, v92
	ds_read2st64_b64 v[105:108], v110 offset1:4
	s_waitcnt lgkmcnt(1)
	v_mul_f32_e32 v152, v104, v38
	v_fma_f32 v152, v103, v37, -v152
	v_mul_f32_e32 v103, v103, v38
	v_fmac_f32_e32 v103, v104, v37
	s_waitcnt lgkmcnt(0)
	v_sub_f32_e32 v153, v105, v136
	v_sub_f32_e32 v154, v106, v137
	;; [unrolled: 1-line block ×4, first 2 shown]
	v_fma_f32 v104, v152, 2.0, -v137
	v_fma_f32 v138, v103, 2.0, -v136
	;; [unrolled: 1-line block ×4, first 2 shown]
	v_sub_f32_e32 v103, v105, v104
	v_sub_f32_e32 v104, v106, v138
	;; [unrolled: 1-line block ×3, first 2 shown]
	v_add_f32_e32 v137, v154, v137
	v_fma_f32 v105, v105, 2.0, -v103
	v_fma_f32 v106, v106, 2.0, -v104
	;; [unrolled: 1-line block ×4, first 2 shown]
	s_barrier
	ds_write2st64_b64 v110, v[105:106], v[138:139] offset1:6
	ds_write2st64_b64 v110, v[103:104], v[136:137] offset0:12 offset1:18
	v_sub_f32_e32 v136, v107, v140
	v_sub_f32_e32 v138, v108, v141
	v_fma_f32 v105, v107, 2.0, -v136
	v_fma_f32 v106, v108, 2.0, -v138
	v_mov_b32_e32 v139, 0x600
	v_sub_f32_e32 v108, v142, v148
	v_sub_f32_e32 v107, v143, v149
	v_fma_f32 v103, v142, 2.0, -v108
	v_fma_f32 v104, v143, 2.0, -v107
	v_cndmask_b32_e32 v98, 0, v139, vcc
	v_sub_f32_e32 v103, v105, v103
	v_sub_f32_e32 v104, v106, v104
	;; [unrolled: 1-line block ×3, first 2 shown]
	v_add_f32_e32 v108, v138, v108
	v_or_b32_e32 v98, v98, v109
	v_fma_f32 v105, v105, 2.0, -v103
	v_fma_f32 v106, v106, 2.0, -v104
	;; [unrolled: 1-line block ×4, first 2 shown]
	v_lshlrev_b32_e32 v136, 3, v98
	ds_write2st64_b64 v136, v[105:106], v[137:138] offset1:6
	ds_write2st64_b64 v136, v[103:104], v[107:108] offset0:12 offset1:18
	v_sub_f32_e32 v105, v101, v146
	v_sub_f32_e32 v106, v102, v147
	;; [unrolled: 1-line block ×4, first 2 shown]
	v_fma_f32 v101, v101, 2.0, -v105
	v_fma_f32 v102, v102, 2.0, -v106
	v_fma_f32 v98, v144, 2.0, -v104
	v_fma_f32 v99, v145, 2.0, -v103
	v_sub_f32_e32 v98, v101, v98
	v_sub_f32_e32 v99, v102, v99
	;; [unrolled: 1-line block ×3, first 2 shown]
	v_add_f32_e32 v104, v106, v104
	v_add_co_u32_e32 v108, vcc, s10, v110
	v_fma_f32 v101, v101, 2.0, -v98
	v_fma_f32 v102, v102, 2.0, -v99
	;; [unrolled: 1-line block ×4, first 2 shown]
	v_addc_co_u32_e32 v109, vcc, 0, v100, vcc
	ds_write2st64_b64 v110, v[101:102], v[105:106] offset0:26 offset1:32
	ds_write2st64_b64 v110, v[98:99], v[103:104] offset0:38 offset1:44
	v_add_co_u32_e32 v98, vcc, s8, v108
	v_addc_co_u32_e32 v99, vcc, 0, v109, vcc
	s_waitcnt lgkmcnt(0)
	s_barrier
	global_load_dwordx2 v[100:101], v[98:99], off offset:4048
	v_add_co_u32_e32 v98, vcc, s9, v108
	v_addc_co_u32_e32 v99, vcc, 0, v109, vcc
	global_load_dwordx2 v[104:105], v[98:99], off offset:2000
	global_load_dwordx2 v[102:103], v[98:99], off offset:4048
	s_movk_i32 s8, 0x4000
	v_add_co_u32_e32 v106, vcc, s8, v108
	v_addc_co_u32_e32 v107, vcc, 0, v109, vcc
	s_movk_i32 s8, 0x5000
	v_add_co_u32_e32 v108, vcc, s8, v108
	v_addc_co_u32_e32 v109, vcc, 0, v109, vcc
	global_load_dwordx2 v[108:109], v[108:109], off offset:2000
	ds_read2st64_b64 v[137:140], v110 offset0:24 offset1:28
	global_load_dwordx2 v[98:99], v[106:107], off offset:2000
	s_waitcnt vmcnt(4) lgkmcnt(0)
	v_mul_f32_e32 v141, v138, v101
	global_load_dwordx2 v[106:107], v[106:107], off offset:4048
	v_fma_f32 v145, v137, v100, -v141
	ds_read2st64_b64 v[141:144], v110 offset0:32 offset1:36
	v_mul_f32_e32 v146, v137, v101
	s_waitcnt vmcnt(4)
	v_mul_f32_e32 v137, v140, v105
	v_fma_f32 v147, v139, v104, -v137
	v_mul_f32_e32 v148, v139, v105
	s_waitcnt vmcnt(3) lgkmcnt(0)
	v_mul_f32_e32 v137, v142, v103
	v_fmac_f32_e32 v146, v138, v100
	v_fmac_f32_e32 v148, v140, v104
	v_fma_f32 v153, v141, v102, -v137
	ds_read2st64_b64 v[137:140], v110 offset0:40 offset1:44
	v_mul_f32_e32 v154, v141, v103
	v_fmac_f32_e32 v154, v142, v102
	s_waitcnt vmcnt(2) lgkmcnt(0)
	v_mul_f32_e32 v160, v139, v109
	v_fmac_f32_e32 v160, v140, v108
	s_waitcnt vmcnt(1)
	v_mul_f32_e32 v141, v144, v99
	v_fma_f32 v155, v143, v98, -v141
	v_mul_f32_e32 v156, v143, v99
	v_fmac_f32_e32 v156, v144, v98
	s_waitcnt vmcnt(0)
	v_mul_f32_e32 v141, v138, v107
	v_fma_f32 v157, v137, v106, -v141
	ds_read2st64_b64 v[141:144], v110 offset1:4
	v_mul_f32_e32 v158, v137, v107
	v_mul_f32_e32 v137, v140, v109
	v_fmac_f32_e32 v158, v138, v106
	v_fma_f32 v159, v139, v108, -v137
	s_waitcnt lgkmcnt(0)
	v_sub_f32_e32 v145, v141, v145
	v_sub_f32_e32 v146, v142, v146
	;; [unrolled: 1-line block ×4, first 2 shown]
	ds_read2st64_b64 v[137:140], v110 offset0:8 offset1:12
	v_fma_f32 v149, v141, 2.0, -v145
	v_fma_f32 v150, v142, 2.0, -v146
	;; [unrolled: 1-line block ×4, first 2 shown]
	ds_read2st64_b64 v[141:144], v110 offset0:16 offset1:20
	s_waitcnt lgkmcnt(1)
	v_sub_f32_e32 v153, v137, v153
	v_sub_f32_e32 v154, v138, v154
	;; [unrolled: 1-line block ×4, first 2 shown]
	s_waitcnt lgkmcnt(0)
	v_sub_f32_e32 v157, v141, v157
	v_sub_f32_e32 v158, v142, v158
	v_sub_f32_e32 v159, v143, v159
	v_sub_f32_e32 v160, v144, v160
	v_fma_f32 v137, v137, 2.0, -v153
	v_fma_f32 v138, v138, 2.0, -v154
	;; [unrolled: 1-line block ×8, first 2 shown]
	ds_write2st64_b64 v110, v[149:150], v[151:152] offset1:4
	ds_write2st64_b64 v110, v[145:146], v[147:148] offset0:24 offset1:28
	ds_write2st64_b64 v110, v[137:138], v[139:140] offset0:8 offset1:12
	;; [unrolled: 1-line block ×5, first 2 shown]
	s_waitcnt lgkmcnt(0)
	s_barrier
	global_load_dwordx2 v[137:138], v110, s[6:7]
	global_load_dwordx2 v[141:142], v110, s[6:7] offset:2048
	global_load_dwordx2 v[143:144], v119, s[6:7]
	global_load_dwordx2 v[145:146], v128, s[6:7]
	s_nop 0
	global_load_dwordx2 v[119:120], v120, s[6:7]
	s_nop 0
	global_load_dwordx2 v[147:148], v127, s[6:7]
	global_load_dwordx2 v[149:150], v115, s[6:7]
	global_load_dwordx2 v[151:152], v125, s[6:7]
	s_nop 0
	global_load_dwordx2 v[115:116], v116, s[6:7]
	s_nop 0
	global_load_dwordx2 v[153:154], v126, s[6:7]
	global_load_dwordx2 v[155:156], v118, s[6:7]
	;; [unrolled: 1-line block ×3, first 2 shown]
	ds_read2st64_b64 v[125:128], v110 offset1:4
	s_waitcnt vmcnt(11) lgkmcnt(0)
	v_mul_f32_e32 v118, v126, v138
	v_mul_f32_e32 v160, v125, v138
	v_fma_f32 v159, v125, v137, -v118
	v_fmac_f32_e32 v160, v126, v137
	ds_read2st64_b64 v[137:140], v110 offset0:8 offset1:12
	s_waitcnt vmcnt(10)
	v_mul_f32_e32 v118, v128, v142
	v_fma_f32 v161, v127, v141, -v118
	v_mul_f32_e32 v162, v127, v142
	v_fmac_f32_e32 v162, v128, v141
	s_waitcnt vmcnt(9) lgkmcnt(0)
	v_mul_f32_e32 v118, v138, v144
	v_fma_f32 v141, v137, v143, -v118
	v_mul_f32_e32 v142, v137, v144
	ds_read2st64_b64 v[125:128], v110 offset0:16 offset1:20
	s_waitcnt vmcnt(8)
	v_mul_f32_e32 v118, v140, v146
	v_mul_f32_e32 v144, v139, v146
	v_fmac_f32_e32 v142, v138, v143
	v_fma_f32 v143, v139, v145, -v118
	v_fmac_f32_e32 v144, v140, v145
	ds_read2st64_b64 v[137:140], v110 offset0:24 offset1:28
	s_waitcnt vmcnt(7) lgkmcnt(1)
	v_mul_f32_e32 v118, v126, v120
	v_mul_f32_e32 v146, v125, v120
	v_fma_f32 v145, v125, v119, -v118
	v_fmac_f32_e32 v146, v126, v119
	s_waitcnt vmcnt(6)
	v_mul_f32_e32 v118, v128, v148
	v_mul_f32_e32 v119, v127, v148
	s_waitcnt vmcnt(5) lgkmcnt(0)
	v_mul_f32_e32 v120, v138, v150
	v_fma_f32 v118, v127, v147, -v118
	v_fmac_f32_e32 v119, v128, v147
	v_fma_f32 v147, v137, v149, -v120
	v_mul_f32_e32 v148, v137, v150
	ds_read2st64_b64 v[125:128], v110 offset0:32 offset1:36
	s_waitcnt vmcnt(4)
	v_mul_f32_e32 v120, v140, v152
	v_mul_f32_e32 v150, v139, v152
	v_fmac_f32_e32 v148, v138, v149
	v_fma_f32 v149, v139, v151, -v120
	v_fmac_f32_e32 v150, v140, v151
	ds_read2st64_b64 v[137:140], v110 offset0:40 offset1:44
	s_waitcnt vmcnt(3) lgkmcnt(1)
	v_mul_f32_e32 v120, v126, v116
	v_fma_f32 v151, v125, v115, -v120
	v_mul_f32_e32 v152, v125, v116
	s_waitcnt vmcnt(2)
	v_mul_f32_e32 v116, v127, v154
	s_waitcnt vmcnt(1) lgkmcnt(0)
	v_mul_f32_e32 v120, v138, v156
	v_fmac_f32_e32 v152, v126, v115
	v_mul_f32_e32 v115, v128, v154
	v_fmac_f32_e32 v116, v128, v153
	v_fma_f32 v125, v137, v155, -v120
	v_mul_f32_e32 v126, v137, v156
	s_waitcnt vmcnt(0)
	v_mul_f32_e32 v120, v140, v158
	v_mul_f32_e32 v128, v139, v158
	v_fma_f32 v115, v127, v153, -v115
	v_fmac_f32_e32 v126, v138, v155
	v_fma_f32 v127, v139, v157, -v120
	v_fmac_f32_e32 v128, v140, v157
	ds_write2st64_b64 v110, v[159:160], v[161:162] offset1:4
	ds_write2st64_b64 v110, v[141:142], v[143:144] offset0:8 offset1:12
	ds_write2st64_b64 v110, v[145:146], v[118:119] offset0:16 offset1:20
	;; [unrolled: 1-line block ×5, first 2 shown]
	s_waitcnt lgkmcnt(0)
	s_barrier
	ds_read2st64_b64 v[125:128], v110 offset0:24 offset1:28
	ds_read2st64_b64 v[137:140], v110 offset0:40 offset1:44
	;; [unrolled: 1-line block ×3, first 2 shown]
	ds_read2st64_b64 v[145:148], v110 offset1:4
	ds_read2st64_b64 v[149:152], v110 offset0:16 offset1:20
	ds_read2st64_b64 v[153:156], v110 offset0:32 offset1:36
	s_waitcnt lgkmcnt(0)
	s_barrier
	v_add_f32_e32 v119, v126, v138
	v_add_f32_e32 v115, v125, v137
	v_fma_f32 v119, -0.5, v119, v142
	v_fma_f32 v115, -0.5, v115, v141
	v_sub_f32_e32 v120, v125, v137
	v_mov_b32_e32 v129, v119
	v_sub_f32_e32 v116, v126, v138
	v_mov_b32_e32 v118, v115
	v_fmac_f32_e32 v129, 0x3f5db3d7, v120
	v_fmac_f32_e32 v118, 0xbf5db3d7, v116
	v_mul_f32_e32 v161, 0xbf5db3d7, v129
	v_mul_f32_e32 v129, 0.5, v129
	v_add_f32_e32 v157, v149, v153
	v_fmac_f32_e32 v161, 0.5, v118
	v_fmac_f32_e32 v129, 0x3f5db3d7, v118
	v_add_f32_e32 v118, v145, v149
	v_fma_f32 v145, -0.5, v157, v145
	v_sub_f32_e32 v162, v150, v154
	v_add_f32_e32 v157, v146, v150
	v_add_f32_e32 v150, v150, v154
	v_fma_f32 v146, -0.5, v150, v146
	v_mov_b32_e32 v163, v145
	v_sub_f32_e32 v149, v149, v153
	v_mov_b32_e32 v150, v146
	v_add_f32_e32 v125, v141, v125
	v_add_f32_e32 v126, v142, v126
	;; [unrolled: 1-line block ×3, first 2 shown]
	v_fmac_f32_e32 v163, 0xbf5db3d7, v162
	v_add_f32_e32 v164, v157, v154
	v_fmac_f32_e32 v150, 0x3f5db3d7, v149
	v_add_f32_e32 v125, v125, v137
	v_add_f32_e32 v126, v126, v138
	;; [unrolled: 1-line block ×6, first 2 shown]
	v_fmac_f32_e32 v119, 0xbf5db3d7, v120
	ds_write_b128 v124, v[157:160]
	v_sub_f32_e32 v159, v118, v125
	v_fmac_f32_e32 v115, 0x3f5db3d7, v116
	v_mul_f32_e32 v116, 0xbf5db3d7, v119
	v_mul_f32_e32 v118, -0.5, v119
	v_fmac_f32_e32 v145, 0x3f5db3d7, v162
	v_fmac_f32_e32 v146, 0xbf5db3d7, v149
	v_fmac_f32_e32 v116, -0.5, v115
	v_fmac_f32_e32 v118, 0x3f5db3d7, v115
	v_sub_f32_e32 v160, v164, v126
	v_add_f32_e32 v157, v145, v116
	v_add_f32_e32 v158, v146, v118
	v_sub_f32_e32 v137, v128, v140
	v_add_f32_e32 v126, v144, v128
	v_add_f32_e32 v128, v128, v140
	ds_write_b128 v124, v[157:160] offset:16
	v_sub_f32_e32 v157, v163, v161
	v_sub_f32_e32 v159, v145, v116
	;; [unrolled: 1-line block ×4, first 2 shown]
	v_add_f32_e32 v120, v152, v156
	v_add_f32_e32 v125, v127, v139
	v_fmac_f32_e32 v144, -0.5, v128
	ds_write_b128 v124, v[157:160] offset:32
	v_add_f32_e32 v116, v151, v155
	v_add_f32_e32 v119, v148, v152
	;; [unrolled: 1-line block ×3, first 2 shown]
	v_sub_f32_e32 v138, v127, v139
	v_fmac_f32_e32 v148, -0.5, v120
	v_fma_f32 v120, -0.5, v125, v143
	v_mov_b32_e32 v125, v144
	v_add_f32_e32 v139, v124, v139
	v_mov_b32_e32 v124, v120
	v_fmac_f32_e32 v125, 0x3f5db3d7, v138
	v_fma_f32 v116, -0.5, v116, v147
	v_add_f32_e32 v115, v147, v151
	v_sub_f32_e32 v118, v152, v156
	v_sub_f32_e32 v129, v151, v155
	v_fmac_f32_e32 v124, 0xbf5db3d7, v137
	v_mul_f32_e32 v128, 0xbf5db3d7, v125
	v_mul_f32_e32 v141, 0.5, v125
	v_mov_b32_e32 v142, v116
	v_mov_b32_e32 v143, v148
	v_fmac_f32_e32 v144, 0xbf5db3d7, v138
	v_add_f32_e32 v115, v115, v155
	v_add_f32_e32 v119, v119, v156
	;; [unrolled: 1-line block ×3, first 2 shown]
	v_fmac_f32_e32 v128, 0.5, v124
	v_fmac_f32_e32 v141, 0x3f5db3d7, v124
	v_fmac_f32_e32 v142, 0xbf5db3d7, v118
	;; [unrolled: 1-line block ×3, first 2 shown]
	v_mul_f32_e32 v138, 0xbf5db3d7, v144
	v_mul_f32_e32 v144, -0.5, v144
	v_fmac_f32_e32 v120, 0x3f5db3d7, v137
	v_add_f32_e32 v124, v115, v139
	v_add_f32_e32 v126, v142, v128
	;; [unrolled: 1-line block ×4, first 2 shown]
	v_fmac_f32_e32 v116, 0x3f5db3d7, v118
	v_fmac_f32_e32 v148, 0xbf5db3d7, v129
	v_fmac_f32_e32 v138, -0.5, v120
	v_fmac_f32_e32 v144, 0x3f5db3d7, v120
	ds_write_b128 v114, v[124:127]
	v_sub_f32_e32 v126, v115, v139
	v_sub_f32_e32 v127, v119, v140
	v_add_f32_e32 v124, v116, v138
	v_add_f32_e32 v125, v148, v144
	ds_write_b128 v114, v[124:127] offset:16
	v_sub_f32_e32 v127, v148, v144
	v_sub_f32_e32 v124, v142, v128
	;; [unrolled: 1-line block ×4, first 2 shown]
	ds_write_b128 v114, v[124:127] offset:32
	s_waitcnt lgkmcnt(0)
	s_barrier
	ds_read2st64_b64 v[124:127], v110 offset0:40 offset1:44
	ds_read2st64_b64 v[137:140], v110 offset0:32 offset1:36
	s_waitcnt lgkmcnt(1)
	v_mul_f32_e32 v114, v83, v125
	v_mul_f32_e32 v83, v83, v124
	v_fmac_f32_e32 v114, v82, v124
	v_fma_f32 v115, v82, v125, -v83
	v_mul_f32_e32 v116, v85, v127
	v_mul_f32_e32 v82, v85, v126
	s_waitcnt lgkmcnt(0)
	v_mul_f32_e32 v85, v81, v140
	v_mul_f32_e32 v81, v81, v139
	v_fmac_f32_e32 v116, v84, v126
	v_fma_f32 v84, v84, v127, -v82
	v_fmac_f32_e32 v85, v80, v139
	v_fma_f32 v118, v80, v140, -v81
	ds_read2st64_b64 v[80:83], v110 offset0:16 offset1:20
	v_mul_f32_e32 v119, v24, v138
	v_mul_f32_e32 v24, v24, v137
	v_fmac_f32_e32 v119, v23, v137
	v_fma_f32 v120, v23, v138, -v24
	s_waitcnt lgkmcnt(0)
	v_mul_f32_e32 v124, v22, v83
	v_mul_f32_e32 v22, v22, v82
	v_fmac_f32_e32 v124, v21, v82
	v_fma_f32 v82, v21, v83, -v22
	ds_read2st64_b64 v[21:24], v110 offset0:24 offset1:28
	v_mul_f32_e32 v83, v10, v81
	v_mul_f32_e32 v10, v10, v80
	v_fmac_f32_e32 v83, v9, v80
	v_fma_f32 v80, v9, v81, -v10
	s_waitcnt lgkmcnt(0)
	v_mul_f32_e32 v81, v12, v24
	v_mul_f32_e32 v9, v12, v23
	v_fmac_f32_e32 v81, v11, v23
	v_fma_f32 v125, v11, v24, -v9
	ds_read2st64_b64 v[9:12], v110 offset0:8 offset1:12
	v_mul_f32_e32 v126, v8, v22
	v_mul_f32_e32 v8, v8, v21
	v_fmac_f32_e32 v126, v7, v21
	v_fma_f32 v7, v7, v22, -v8
	ds_read2st64_b64 v[21:24], v110 offset1:4
	s_waitcnt lgkmcnt(1)
	v_mul_f32_e32 v8, v6, v12
	v_mul_f32_e32 v6, v6, v11
	v_fmac_f32_e32 v8, v5, v11
	v_fma_f32 v5, v5, v12, -v6
	s_waitcnt lgkmcnt(0)
	v_sub_f32_e32 v126, v21, v126
	v_sub_f32_e32 v127, v22, v7
	;; [unrolled: 1-line block ×4, first 2 shown]
	v_fma_f32 v6, v8, 2.0, -v12
	v_fma_f32 v7, v5, 2.0, -v11
	;; [unrolled: 1-line block ×4, first 2 shown]
	v_sub_f32_e32 v5, v8, v6
	v_sub_f32_e32 v6, v21, v7
	v_add_f32_e32 v11, v126, v11
	v_sub_f32_e32 v12, v127, v12
	v_fma_f32 v7, v8, 2.0, -v5
	v_fma_f32 v8, v21, 2.0, -v6
	;; [unrolled: 1-line block ×4, first 2 shown]
	s_barrier
	ds_write2_b64 v117, v[7:8], v[21:22] offset1:6
	ds_write2_b64 v117, v[5:6], v[11:12] offset0:12 offset1:18
	v_sub_f32_e32 v11, v23, v81
	v_sub_f32_e32 v12, v24, v125
	;; [unrolled: 1-line block ×4, first 2 shown]
	v_fma_f32 v7, v23, 2.0, -v11
	v_fma_f32 v8, v24, 2.0, -v12
	;; [unrolled: 1-line block ×4, first 2 shown]
	v_sub_f32_e32 v10, v83, v114
	v_sub_f32_e32 v9, v80, v115
	v_fma_f32 v5, v83, 2.0, -v10
	v_fma_f32 v6, v80, 2.0, -v9
	v_sub_f32_e32 v81, v124, v116
	v_sub_f32_e32 v80, v82, v84
	v_sub_f32_e32 v5, v7, v5
	v_sub_f32_e32 v6, v8, v6
	v_add_f32_e32 v9, v11, v9
	v_sub_f32_e32 v10, v12, v10
	v_fma_f32 v21, v124, 2.0, -v81
	v_fma_f32 v22, v82, 2.0, -v80
	;; [unrolled: 1-line block ×6, first 2 shown]
	v_sub_f32_e32 v21, v23, v21
	v_sub_f32_e32 v22, v24, v22
	v_add_f32_e32 v80, v85, v80
	v_sub_f32_e32 v81, v117, v81
	v_fma_f32 v23, v23, 2.0, -v21
	v_fma_f32 v24, v24, 2.0, -v22
	;; [unrolled: 1-line block ×4, first 2 shown]
	ds_write2_b64 v113, v[7:8], v[11:12] offset1:6
	ds_write2_b64 v113, v[5:6], v[9:10] offset0:12 offset1:18
	ds_write2_b64 v112, v[23:24], v[82:83] offset1:6
	ds_write2_b64 v112, v[21:22], v[80:81] offset0:12 offset1:18
	s_waitcnt lgkmcnt(0)
	s_barrier
	ds_read2st64_b64 v[7:10], v110 offset0:24 offset1:28
	ds_read2st64_b64 v[21:24], v110 offset1:4
	ds_read2st64_b64 v[80:83], v110 offset0:16 offset1:20
	v_mad_u64_u32 v[5:6], s[6:7], s2, v71, 0
	s_waitcnt lgkmcnt(2)
	v_mul_f32_e32 v84, v4, v8
	v_mul_f32_e32 v4, v4, v7
	v_fmac_f32_e32 v84, v3, v7
	v_fma_f32 v3, v3, v8, -v4
	v_mul_f32_e32 v112, v16, v10
	v_mul_f32_e32 v4, v16, v9
	v_fmac_f32_e32 v112, v15, v9
	v_fma_f32 v15, v15, v10, -v4
	ds_read2st64_b64 v[7:10], v110 offset0:32 offset1:36
	s_waitcnt lgkmcnt(1)
	v_mul_f32_e32 v85, v14, v81
	v_mul_f32_e32 v4, v14, v80
	v_fmac_f32_e32 v85, v13, v80
	v_fma_f32 v16, v13, v81, -v4
	v_mul_f32_e32 v80, v18, v83
	v_mul_f32_e32 v4, v18, v82
	v_fmac_f32_e32 v80, v17, v82
	v_fma_f32 v81, v17, v83, -v4
	s_waitcnt lgkmcnt(0)
	v_mul_f32_e32 v82, v20, v8
	v_mul_f32_e32 v4, v20, v7
	v_fmac_f32_e32 v82, v19, v7
	v_fma_f32 v83, v19, v8, -v4
	ds_read2st64_b64 v[11:14], v110 offset0:8 offset1:12
	v_mul_f32_e32 v4, v75, v10
	v_mul_f32_e32 v7, v75, v9
	v_fmac_f32_e32 v4, v74, v9
	v_fma_f32 v17, v74, v10, -v7
	ds_read2st64_b64 v[7:10], v110 offset0:40 offset1:44
	s_waitcnt lgkmcnt(1)
	v_mul_f32_e32 v18, v2, v14
	v_mul_f32_e32 v2, v2, v13
	v_fmac_f32_e32 v18, v1, v13
	v_fma_f32 v1, v1, v14, -v2
	s_waitcnt lgkmcnt(0)
	v_mul_f32_e32 v2, v79, v7
	v_fma_f32 v14, v78, v8, -v2
	v_mul_f32_e32 v74, v77, v10
	v_mul_f32_e32 v2, v77, v9
	;; [unrolled: 1-line block ×3, first 2 shown]
	v_fmac_f32_e32 v74, v76, v9
	v_fma_f32 v75, v76, v10, -v2
	v_sub_f32_e32 v9, v21, v84
	v_sub_f32_e32 v10, v22, v3
	;; [unrolled: 1-line block ×4, first 2 shown]
	v_fmac_f32_e32 v13, v78, v7
	v_fma_f32 v3, v21, 2.0, -v9
	v_fma_f32 v7, v22, 2.0, -v10
	;; [unrolled: 1-line block ×4, first 2 shown]
	v_sub_f32_e32 v1, v3, v2
	v_sub_f32_e32 v2, v7, v4
	;; [unrolled: 1-line block ×4, first 2 shown]
	v_fma_f32 v4, v7, 2.0, -v2
	v_add_f32_e32 v7, v9, v17
	v_sub_f32_e32 v19, v23, v112
	v_fma_f32 v17, v24, 2.0, -v20
	v_fma_f32 v14, v16, 2.0, -v21
	;; [unrolled: 1-line block ×3, first 2 shown]
	v_sub_f32_e32 v18, v85, v13
	v_sub_f32_e32 v14, v17, v14
	;; [unrolled: 1-line block ×6, first 2 shown]
	v_fma_f32 v13, v85, 2.0, -v18
	v_fma_f32 v16, v17, 2.0, -v14
	v_add_f32_e32 v17, v19, v21
	v_fma_f32 v21, v11, 2.0, -v76
	v_fma_f32 v22, v12, 2.0, -v77
	;; [unrolled: 1-line block ×4, first 2 shown]
	v_sub_f32_e32 v8, v10, v8
	v_sub_f32_e32 v13, v15, v13
	;; [unrolled: 1-line block ×5, first 2 shown]
	v_add_f32_e32 v23, v76, v23
	v_sub_f32_e32 v24, v77, v24
	v_fma_f32 v3, v3, 2.0, -v1
	v_fma_f32 v9, v9, 2.0, -v7
	;; [unrolled: 1-line block ×10, first 2 shown]
	s_barrier
	ds_write2_b64 v121, v[3:4], v[9:10] offset1:24
	ds_write2_b64 v121, v[1:2], v[7:8] offset0:48 offset1:72
	ds_write2_b64 v122, v[15:16], v[19:20] offset1:24
	ds_write2_b64 v122, v[13:14], v[17:18] offset0:48 offset1:72
	;; [unrolled: 2-line block ×3, first 2 shown]
	s_waitcnt lgkmcnt(0)
	s_barrier
	ds_read2st64_b64 v[1:4], v110 offset1:4
	ds_read2st64_b64 v[7:10], v110 offset0:8 offset1:12
	ds_read2st64_b64 v[11:14], v110 offset0:24 offset1:28
	;; [unrolled: 1-line block ×5, first 2 shown]
	s_waitcnt lgkmcnt(4)
	v_mul_f32_e32 v23, v26, v10
	v_fmac_f32_e32 v23, v25, v9
	v_mul_f32_e32 v9, v26, v9
	v_fma_f32 v9, v25, v10, -v9
	s_waitcnt lgkmcnt(3)
	v_mul_f32_e32 v10, v28, v12
	v_fmac_f32_e32 v10, v27, v11
	v_mul_f32_e32 v11, v28, v11
	v_fma_f32 v11, v27, v12, -v11
	;; [unrolled: 5-line block ×4, first 2 shown]
	v_mul_f32_e32 v20, v36, v14
	v_fmac_f32_e32 v20, v35, v13
	v_mul_f32_e32 v13, v36, v13
	v_fma_f32 v24, v35, v14, -v13
	s_waitcnt lgkmcnt(0)
	v_mul_f32_e32 v13, v91, v74
	v_fma_f32 v26, v90, v75, -v13
	v_mul_f32_e32 v27, v30, v22
	v_mul_f32_e32 v13, v30, v21
	v_fmac_f32_e32 v27, v29, v21
	v_fma_f32 v21, v29, v22, -v13
	v_mul_f32_e32 v13, v32, v15
	v_mul_f32_e32 v22, v32, v16
	v_fma_f32 v28, v31, v16, -v13
	v_mul_f32_e32 v13, v89, v76
	v_mul_f32_e32 v25, v91, v75
	v_fmac_f32_e32 v22, v31, v15
	v_fma_f32 v30, v88, v77, -v13
	v_sub_f32_e32 v13, v1, v10
	v_sub_f32_e32 v14, v2, v11
	v_sub_f32_e32 v12, v23, v12
	v_sub_f32_e32 v15, v9, v17
	v_fmac_f32_e32 v25, v90, v74
	v_mul_f32_e32 v29, v89, v77
	v_fma_f32 v10, v1, 2.0, -v13
	v_fma_f32 v11, v2, 2.0, -v14
	v_fma_f32 v1, v23, 2.0, -v12
	v_fma_f32 v2, v9, 2.0, -v15
	v_fmac_f32_e32 v29, v88, v76
	v_sub_f32_e32 v1, v10, v1
	v_sub_f32_e32 v2, v11, v2
	;; [unrolled: 1-line block ×6, first 2 shown]
	v_fma_f32 v9, v10, 2.0, -v1
	v_fma_f32 v10, v11, 2.0, -v2
	v_add_f32_e32 v11, v13, v15
	v_fma_f32 v15, v3, 2.0, -v20
	v_fma_f32 v16, v4, 2.0, -v23
	;; [unrolled: 1-line block ×4, first 2 shown]
	v_add_f32_e32 v17, v20, v17
	v_sub_f32_e32 v18, v23, v24
	v_sub_f32_e32 v25, v7, v22
	;; [unrolled: 1-line block ×5, first 2 shown]
	v_fma_f32 v19, v20, 2.0, -v17
	v_fma_f32 v20, v23, 2.0, -v18
	;; [unrolled: 1-line block ×6, first 2 shown]
	v_sub_f32_e32 v7, v22, v7
	v_sub_f32_e32 v8, v23, v8
	;; [unrolled: 1-line block ×5, first 2 shown]
	v_fma_f32 v21, v22, 2.0, -v7
	v_fma_f32 v22, v23, 2.0, -v8
	v_add_f32_e32 v23, v25, v28
	v_sub_f32_e32 v24, v26, v24
	v_fma_f32 v13, v13, 2.0, -v11
	v_fma_f32 v14, v14, 2.0, -v12
	;; [unrolled: 1-line block ×6, first 2 shown]
	s_barrier
	ds_write2_b64 v130, v[9:10], v[13:14] offset1:96
	ds_write2_b64 v131, v[1:2], v[11:12] offset0:64 offset1:160
	ds_write2_b64 v132, v[15:16], v[19:20] offset1:96
	ds_write2_b64 v133, v[3:4], v[17:18] offset0:64 offset1:160
	;; [unrolled: 2-line block ×3, first 2 shown]
	s_waitcnt lgkmcnt(0)
	s_barrier
	ds_read2st64_b64 v[1:4], v110 offset1:4
	ds_read2st64_b64 v[7:10], v110 offset0:8 offset1:12
	ds_read2st64_b64 v[11:14], v110 offset0:24 offset1:28
	;; [unrolled: 1-line block ×5, first 2 shown]
	s_waitcnt lgkmcnt(4)
	v_mul_f32_e32 v27, v38, v10
	v_fmac_f32_e32 v27, v37, v9
	v_mul_f32_e32 v9, v38, v9
	v_fma_f32 v9, v37, v10, -v9
	s_waitcnt lgkmcnt(3)
	v_mul_f32_e32 v10, v40, v12
	v_fmac_f32_e32 v10, v39, v11
	v_mul_f32_e32 v11, v40, v11
	v_fma_f32 v11, v39, v12, -v11
	;; [unrolled: 5-line block ×4, first 2 shown]
	v_mul_f32_e32 v20, v44, v14
	v_fmac_f32_e32 v20, v43, v13
	v_mul_f32_e32 v13, v44, v13
	v_fma_f32 v28, v43, v14, -v13
	s_waitcnt lgkmcnt(0)
	v_mul_f32_e32 v29, v97, v24
	v_mul_f32_e32 v13, v97, v23
	v_fmac_f32_e32 v29, v96, v23
	v_fma_f32 v23, v96, v24, -v13
	v_mul_f32_e32 v24, v46, v22
	v_mul_f32_e32 v13, v46, v21
	v_fmac_f32_e32 v24, v45, v21
	v_fma_f32 v21, v45, v22, -v13
	v_mul_f32_e32 v13, v48, v15
	v_mul_f32_e32 v22, v48, v16
	v_fma_f32 v30, v47, v16, -v13
	v_mul_f32_e32 v31, v93, v26
	v_mul_f32_e32 v13, v93, v25
	v_fmac_f32_e32 v22, v47, v15
	v_fmac_f32_e32 v31, v92, v25
	v_fma_f32 v25, v92, v26, -v13
	v_sub_f32_e32 v13, v1, v10
	v_sub_f32_e32 v14, v2, v11
	v_sub_f32_e32 v12, v27, v12
	v_sub_f32_e32 v15, v9, v17
	v_fma_f32 v10, v1, 2.0, -v13
	v_fma_f32 v11, v2, 2.0, -v14
	;; [unrolled: 1-line block ×4, first 2 shown]
	v_sub_f32_e32 v1, v10, v1
	v_sub_f32_e32 v2, v11, v2
	;; [unrolled: 1-line block ×6, first 2 shown]
	v_fma_f32 v9, v10, 2.0, -v1
	v_fma_f32 v10, v11, 2.0, -v2
	v_add_f32_e32 v11, v13, v15
	v_fma_f32 v15, v3, 2.0, -v20
	v_fma_f32 v16, v4, 2.0, -v26
	;; [unrolled: 1-line block ×4, first 2 shown]
	v_add_f32_e32 v17, v20, v17
	v_sub_f32_e32 v18, v26, v27
	v_fma_f32 v19, v20, 2.0, -v17
	v_fma_f32 v20, v26, 2.0, -v18
	v_sub_f32_e32 v26, v7, v22
	v_sub_f32_e32 v27, v8, v30
	;; [unrolled: 1-line block ×4, first 2 shown]
	v_fma_f32 v22, v7, 2.0, -v26
	v_fma_f32 v23, v8, 2.0, -v27
	;; [unrolled: 1-line block ×4, first 2 shown]
	v_sub_f32_e32 v7, v22, v7
	v_sub_f32_e32 v8, v23, v8
	;; [unrolled: 1-line block ×5, first 2 shown]
	v_fma_f32 v21, v22, 2.0, -v7
	v_fma_f32 v22, v23, 2.0, -v8
	v_add_f32_e32 v23, v26, v25
	v_sub_f32_e32 v24, v27, v28
	v_fma_f32 v13, v13, 2.0, -v11
	v_fma_f32 v14, v14, 2.0, -v12
	;; [unrolled: 1-line block ×6, first 2 shown]
	s_barrier
	ds_write2st64_b64 v110, v[9:10], v[13:14] offset1:6
	ds_write2st64_b64 v110, v[1:2], v[11:12] offset0:12 offset1:18
	ds_write2st64_b64 v136, v[15:16], v[19:20] offset1:6
	ds_write2st64_b64 v136, v[3:4], v[17:18] offset0:12 offset1:18
	ds_write2st64_b64 v110, v[21:22], v[25:26] offset0:26 offset1:32
	;; [unrolled: 1-line block ×3, first 2 shown]
	s_waitcnt lgkmcnt(0)
	s_barrier
	ds_read2st64_b64 v[1:4], v110 offset1:4
	ds_read2st64_b64 v[7:10], v110 offset0:24 offset1:28
	ds_read2st64_b64 v[11:14], v110 offset0:8 offset1:12
	;; [unrolled: 1-line block ×5, first 2 shown]
	s_waitcnt lgkmcnt(4)
	v_mul_f32_e32 v27, v101, v8
	v_fmac_f32_e32 v27, v100, v7
	v_mul_f32_e32 v7, v101, v7
	v_fma_f32 v8, v100, v8, -v7
	v_mul_f32_e32 v7, v105, v9
	v_mul_f32_e32 v28, v105, v10
	v_fma_f32 v10, v104, v10, -v7
	s_waitcnt lgkmcnt(2)
	v_mul_f32_e32 v7, v103, v15
	v_mul_f32_e32 v29, v103, v16
	v_fma_f32 v16, v102, v16, -v7
	v_mul_f32_e32 v7, v99, v17
	v_mul_f32_e32 v30, v99, v18
	v_fma_f32 v18, v98, v18, -v7
	s_waitcnt lgkmcnt(0)
	v_mul_f32_e32 v7, v107, v23
	v_fmac_f32_e32 v28, v104, v9
	v_mul_f32_e32 v31, v107, v24
	v_fma_f32 v24, v106, v24, -v7
	v_mul_f32_e32 v32, v109, v26
	v_mul_f32_e32 v7, v109, v25
	v_fmac_f32_e32 v29, v102, v15
	v_fmac_f32_e32 v30, v98, v17
	;; [unrolled: 1-line block ×4, first 2 shown]
	v_fma_f32 v26, v108, v26, -v7
	v_sub_f32_e32 v7, v1, v27
	v_sub_f32_e32 v8, v2, v8
	;; [unrolled: 1-line block ×4, first 2 shown]
	v_fma_f32 v1, v1, 2.0, -v7
	v_fma_f32 v2, v2, 2.0, -v8
	;; [unrolled: 1-line block ×4, first 2 shown]
	v_sub_f32_e32 v15, v11, v29
	v_sub_f32_e32 v16, v12, v16
	;; [unrolled: 1-line block ×8, first 2 shown]
	v_fma_f32 v11, v11, 2.0, -v15
	v_fma_f32 v12, v12, 2.0, -v16
	;; [unrolled: 1-line block ×8, first 2 shown]
	ds_write2st64_b64 v110, v[1:2], v[3:4] offset1:4
	ds_write2st64_b64 v110, v[7:8], v[9:10] offset0:24 offset1:28
	ds_write2st64_b64 v110, v[11:12], v[13:14] offset0:8 offset1:12
	;; [unrolled: 1-line block ×5, first 2 shown]
	s_waitcnt lgkmcnt(0)
	s_barrier
	ds_read2st64_b64 v[1:4], v110 offset1:4
	v_mad_u64_u32 v[6:7], s[2:3], s3, v71, v[6:7]
	s_mov_b32 s2, 0x55555555
	s_mov_b32 s3, 0x3f355555
	s_waitcnt lgkmcnt(0)
	v_mul_f32_e32 v7, v73, v2
	v_fmac_f32_e32 v7, v72, v1
	v_cvt_f64_f32_e32 v[7:8], v7
	v_mul_f32_e32 v1, v73, v1
	v_fma_f32 v1, v72, v2, -v1
	v_mad_u64_u32 v[11:12], s[6:7], s0, v0, 0
	v_mul_f64 v[7:8], v[7:8], s[2:3]
	v_cvt_f64_f32_e32 v[1:2], v1
	v_mov_b32_e32 v9, v12
	v_mad_u64_u32 v[12:13], s[6:7], s1, v0, v[9:10]
	v_mul_f64 v[1:2], v[1:2], s[2:3]
	v_lshlrev_b64 v[5:6], 3, v[5:6]
	v_cvt_f32_f64_e32 v0, v[7:8]
	ds_read2st64_b64 v[7:10], v110 offset0:8 offset1:12
	v_add_co_u32_e32 v15, vcc, s4, v5
	v_cvt_f32_f64_e32 v1, v[1:2]
	s_waitcnt lgkmcnt(0)
	v_mul_f32_e32 v13, v70, v8
	v_fmac_f32_e32 v13, v69, v7
	v_mul_f32_e32 v7, v70, v7
	v_fma_f32 v7, v69, v8, -v7
	v_mov_b32_e32 v2, s5
	v_cvt_f64_f32_e32 v[13:14], v13
	v_cvt_f64_f32_e32 v[7:8], v7
	v_addc_co_u32_e32 v2, vcc, v2, v6, vcc
	v_lshlrev_b64 v[5:6], 3, v[11:12]
	v_mul_f64 v[11:12], v[13:14], s[2:3]
	v_add_co_u32_e32 v15, vcc, v15, v5
	v_mul_f64 v[13:14], v[7:8], s[2:3]
	v_addc_co_u32_e32 v16, vcc, v2, v6, vcc
	ds_read2st64_b64 v[5:8], v110 offset0:16 offset1:20
	global_store_dwordx2 v[15:16], v[0:1], off
	v_cvt_f32_f64_e32 v0, v[11:12]
	s_lshl_b64 s[4:5], s[0:1], 12
	v_mov_b32_e32 v25, s5
	s_waitcnt lgkmcnt(0)
	v_mul_f32_e32 v2, v68, v6
	v_fmac_f32_e32 v2, v67, v5
	v_cvt_f64_f32_e32 v[17:18], v2
	v_mul_f32_e32 v2, v68, v5
	v_fma_f32 v2, v67, v6, -v2
	v_cvt_f32_f64_e32 v1, v[13:14]
	v_cvt_f64_f32_e32 v[5:6], v2
	ds_read2st64_b64 v[11:14], v110 offset0:24 offset1:28
	v_add_co_u32_e32 v19, vcc, s4, v15
	v_addc_co_u32_e32 v20, vcc, v16, v25, vcc
	global_store_dwordx2 v[19:20], v[0:1], off
	v_mul_f64 v[0:1], v[17:18], s[2:3]
	v_mul_f64 v[5:6], v[5:6], s[2:3]
	s_waitcnt lgkmcnt(0)
	v_mul_f32_e32 v2, v66, v12
	v_fmac_f32_e32 v2, v65, v11
	v_cvt_f64_f32_e32 v[15:16], v2
	v_mul_f32_e32 v2, v66, v11
	v_fma_f32 v2, v65, v12, -v2
	v_cvt_f64_f32_e32 v[11:12], v2
	v_cvt_f32_f64_e32 v0, v[0:1]
	v_cvt_f32_f64_e32 v1, v[5:6]
	v_mul_f64 v[5:6], v[15:16], s[2:3]
	ds_read2st64_b64 v[15:18], v110 offset0:32 offset1:36
	v_mul_f64 v[11:12], v[11:12], s[2:3]
	v_add_co_u32_e32 v23, vcc, s4, v19
	v_addc_co_u32_e32 v24, vcc, v20, v25, vcc
	s_waitcnt lgkmcnt(0)
	v_mul_f32_e32 v2, v62, v16
	v_fmac_f32_e32 v2, v61, v15
	global_store_dwordx2 v[23:24], v[0:1], off
	v_cvt_f32_f64_e32 v0, v[5:6]
	v_cvt_f64_f32_e32 v[5:6], v2
	ds_read2st64_b64 v[19:22], v110 offset0:40 offset1:44
	v_mul_f32_e32 v2, v62, v15
	v_fma_f32 v2, v61, v16, -v2
	v_cvt_f32_f64_e32 v1, v[11:12]
	v_cvt_f64_f32_e32 v[11:12], v2
	v_mul_f64 v[5:6], v[5:6], s[2:3]
	s_waitcnt lgkmcnt(0)
	v_mul_f32_e32 v2, v64, v20
	v_add_co_u32_e32 v15, vcc, s4, v23
	v_fmac_f32_e32 v2, v63, v19
	v_addc_co_u32_e32 v16, vcc, v24, v25, vcc
	v_mul_f64 v[11:12], v[11:12], s[2:3]
	v_cvt_f64_f32_e32 v[23:24], v2
	global_store_dwordx2 v[15:16], v[0:1], off
	v_cvt_f32_f64_e32 v0, v[5:6]
	v_mul_f32_e32 v2, v64, v19
	v_mul_f64 v[5:6], v[23:24], s[2:3]
	v_fma_f32 v2, v63, v20, -v2
	v_cvt_f64_f32_e32 v[19:20], v2
	v_cvt_f32_f64_e32 v1, v[11:12]
	v_add_co_u32_e32 v11, vcc, s4, v15
	v_mul_f32_e32 v2, v60, v4
	v_addc_co_u32_e32 v12, vcc, v16, v25, vcc
	v_fmac_f32_e32 v2, v59, v3
	v_mul_f64 v[19:20], v[19:20], s[2:3]
	global_store_dwordx2 v[11:12], v[0:1], off
	v_cvt_f32_f64_e32 v0, v[5:6]
	v_cvt_f64_f32_e32 v[5:6], v2
	v_mul_f32_e32 v2, v60, v3
	v_fma_f32 v2, v59, v4, -v2
	v_cvt_f64_f32_e32 v[2:3], v2
	v_mul_f64 v[4:5], v[5:6], s[2:3]
	v_mul_f32_e32 v6, v58, v10
	v_fmac_f32_e32 v6, v57, v9
	v_cvt_f32_f64_e32 v1, v[19:20]
	v_mul_f64 v[2:3], v[2:3], s[2:3]
	v_cvt_f64_f32_e32 v[15:16], v6
	v_add_co_u32_e32 v11, vcc, s4, v11
	v_addc_co_u32_e32 v12, vcc, v12, v25, vcc
	v_mul_f32_e32 v6, v58, v9
	global_store_dwordx2 v[11:12], v[0:1], off
	v_cvt_f32_f64_e32 v0, v[4:5]
	v_mul_f64 v[4:5], v[15:16], s[2:3]
	v_fma_f32 v6, v57, v10, -v6
	v_cvt_f64_f32_e32 v[9:10], v6
	v_mad_u64_u32 v[11:12], s[6:7], s0, v111, v[11:12]
	v_cvt_f32_f64_e32 v1, v[2:3]
	v_mul_f32_e32 v2, v56, v8
	s_mulk_i32 s1, 0xb800
	v_fmac_f32_e32 v2, v55, v7
	v_mul_f64 v[9:10], v[9:10], s[2:3]
	s_sub_i32 s0, s1, s0
	v_cvt_f64_f32_e32 v[2:3], v2
	v_add_u32_e32 v12, s0, v12
	global_store_dwordx2 v[11:12], v[0:1], off
	v_cvt_f32_f64_e32 v0, v[4:5]
	v_mul_f32_e32 v4, v56, v7
	v_fma_f32 v4, v55, v8, -v4
	v_cvt_f64_f32_e32 v[4:5], v4
	v_mul_f64 v[2:3], v[2:3], s[2:3]
	v_mul_f32_e32 v8, v54, v14
	v_fmac_f32_e32 v8, v53, v13
	v_cvt_f32_f64_e32 v1, v[9:10]
	v_mul_f64 v[4:5], v[4:5], s[2:3]
	v_cvt_f64_f32_e32 v[8:9], v8
	v_add_co_u32_e32 v6, vcc, s4, v11
	v_addc_co_u32_e32 v7, vcc, v12, v25, vcc
	global_store_dwordx2 v[6:7], v[0:1], off
	v_cvt_f32_f64_e32 v0, v[2:3]
	v_mul_f64 v[2:3], v[8:9], s[2:3]
	v_mul_f32_e32 v10, v54, v13
	v_fma_f32 v10, v53, v14, -v10
	v_cvt_f64_f32_e32 v[10:11], v10
	v_cvt_f32_f64_e32 v1, v[4:5]
	v_add_co_u32_e32 v4, vcc, s4, v6
	v_addc_co_u32_e32 v5, vcc, v7, v25, vcc
	v_mul_f64 v[8:9], v[10:11], s[2:3]
	global_store_dwordx2 v[4:5], v[0:1], off
	v_cvt_f32_f64_e32 v0, v[2:3]
	v_mul_f32_e32 v2, v52, v18
	v_fmac_f32_e32 v2, v51, v17
	v_cvt_f64_f32_e32 v[2:3], v2
	v_mul_f32_e32 v6, v52, v17
	v_fma_f32 v6, v51, v18, -v6
	v_cvt_f64_f32_e32 v[6:7], v6
	v_mul_f64 v[2:3], v[2:3], s[2:3]
	v_cvt_f32_f64_e32 v1, v[8:9]
	v_mul_f32_e32 v8, v50, v22
	v_mul_f32_e32 v10, v50, v21
	v_fmac_f32_e32 v8, v49, v21
	v_fma_f32 v10, v49, v22, -v10
	v_mul_f64 v[6:7], v[6:7], s[2:3]
	v_cvt_f64_f32_e32 v[8:9], v8
	v_cvt_f64_f32_e32 v[10:11], v10
	v_add_co_u32_e32 v4, vcc, s4, v4
	v_addc_co_u32_e32 v5, vcc, v5, v25, vcc
	global_store_dwordx2 v[4:5], v[0:1], off
	v_cvt_f32_f64_e32 v0, v[2:3]
	v_mul_f64 v[2:3], v[8:9], s[2:3]
	v_mul_f64 v[8:9], v[10:11], s[2:3]
	v_cvt_f32_f64_e32 v1, v[6:7]
	v_add_co_u32_e32 v4, vcc, s4, v4
	v_addc_co_u32_e32 v5, vcc, v5, v25, vcc
	global_store_dwordx2 v[4:5], v[0:1], off
	v_cvt_f32_f64_e32 v0, v[2:3]
	v_cvt_f32_f64_e32 v1, v[8:9]
	v_add_co_u32_e32 v2, vcc, s4, v4
	v_addc_co_u32_e32 v3, vcc, v5, v25, vcc
	global_store_dwordx2 v[2:3], v[0:1], off
.LBB0_2:
	s_endpgm
	.section	.rodata,"a",@progbits
	.p2align	6, 0x0
	.amdhsa_kernel bluestein_single_back_len3072_dim1_sp_op_CI_CI
		.amdhsa_group_segment_fixed_size 24576
		.amdhsa_private_segment_fixed_size 0
		.amdhsa_kernarg_size 104
		.amdhsa_user_sgpr_count 6
		.amdhsa_user_sgpr_private_segment_buffer 1
		.amdhsa_user_sgpr_dispatch_ptr 0
		.amdhsa_user_sgpr_queue_ptr 0
		.amdhsa_user_sgpr_kernarg_segment_ptr 1
		.amdhsa_user_sgpr_dispatch_id 0
		.amdhsa_user_sgpr_flat_scratch_init 0
		.amdhsa_user_sgpr_private_segment_size 0
		.amdhsa_uses_dynamic_stack 0
		.amdhsa_system_sgpr_private_segment_wavefront_offset 0
		.amdhsa_system_sgpr_workgroup_id_x 1
		.amdhsa_system_sgpr_workgroup_id_y 0
		.amdhsa_system_sgpr_workgroup_id_z 0
		.amdhsa_system_sgpr_workgroup_info 0
		.amdhsa_system_vgpr_workitem_id 0
		.amdhsa_next_free_vgpr 165
		.amdhsa_next_free_sgpr 20
		.amdhsa_reserve_vcc 1
		.amdhsa_reserve_flat_scratch 0
		.amdhsa_float_round_mode_32 0
		.amdhsa_float_round_mode_16_64 0
		.amdhsa_float_denorm_mode_32 3
		.amdhsa_float_denorm_mode_16_64 3
		.amdhsa_dx10_clamp 1
		.amdhsa_ieee_mode 1
		.amdhsa_fp16_overflow 0
		.amdhsa_exception_fp_ieee_invalid_op 0
		.amdhsa_exception_fp_denorm_src 0
		.amdhsa_exception_fp_ieee_div_zero 0
		.amdhsa_exception_fp_ieee_overflow 0
		.amdhsa_exception_fp_ieee_underflow 0
		.amdhsa_exception_fp_ieee_inexact 0
		.amdhsa_exception_int_div_zero 0
	.end_amdhsa_kernel
	.text
.Lfunc_end0:
	.size	bluestein_single_back_len3072_dim1_sp_op_CI_CI, .Lfunc_end0-bluestein_single_back_len3072_dim1_sp_op_CI_CI
                                        ; -- End function
	.section	.AMDGPU.csdata,"",@progbits
; Kernel info:
; codeLenInByte = 10208
; NumSgprs: 24
; NumVgprs: 165
; ScratchSize: 0
; MemoryBound: 0
; FloatMode: 240
; IeeeMode: 1
; LDSByteSize: 24576 bytes/workgroup (compile time only)
; SGPRBlocks: 2
; VGPRBlocks: 41
; NumSGPRsForWavesPerEU: 24
; NumVGPRsForWavesPerEU: 165
; Occupancy: 1
; WaveLimiterHint : 1
; COMPUTE_PGM_RSRC2:SCRATCH_EN: 0
; COMPUTE_PGM_RSRC2:USER_SGPR: 6
; COMPUTE_PGM_RSRC2:TRAP_HANDLER: 0
; COMPUTE_PGM_RSRC2:TGID_X_EN: 1
; COMPUTE_PGM_RSRC2:TGID_Y_EN: 0
; COMPUTE_PGM_RSRC2:TGID_Z_EN: 0
; COMPUTE_PGM_RSRC2:TIDIG_COMP_CNT: 0
	.type	__hip_cuid_36f98dc50b81dbfc,@object ; @__hip_cuid_36f98dc50b81dbfc
	.section	.bss,"aw",@nobits
	.globl	__hip_cuid_36f98dc50b81dbfc
__hip_cuid_36f98dc50b81dbfc:
	.byte	0                               ; 0x0
	.size	__hip_cuid_36f98dc50b81dbfc, 1

	.ident	"AMD clang version 19.0.0git (https://github.com/RadeonOpenCompute/llvm-project roc-6.4.0 25133 c7fe45cf4b819c5991fe208aaa96edf142730f1d)"
	.section	".note.GNU-stack","",@progbits
	.addrsig
	.addrsig_sym __hip_cuid_36f98dc50b81dbfc
	.amdgpu_metadata
---
amdhsa.kernels:
  - .args:
      - .actual_access:  read_only
        .address_space:  global
        .offset:         0
        .size:           8
        .value_kind:     global_buffer
      - .actual_access:  read_only
        .address_space:  global
        .offset:         8
        .size:           8
        .value_kind:     global_buffer
      - .actual_access:  read_only
        .address_space:  global
        .offset:         16
        .size:           8
        .value_kind:     global_buffer
      - .actual_access:  read_only
        .address_space:  global
        .offset:         24
        .size:           8
        .value_kind:     global_buffer
      - .actual_access:  read_only
        .address_space:  global
        .offset:         32
        .size:           8
        .value_kind:     global_buffer
      - .offset:         40
        .size:           8
        .value_kind:     by_value
      - .address_space:  global
        .offset:         48
        .size:           8
        .value_kind:     global_buffer
      - .address_space:  global
        .offset:         56
        .size:           8
        .value_kind:     global_buffer
      - .address_space:  global
        .offset:         64
        .size:           8
        .value_kind:     global_buffer
      - .address_space:  global
        .offset:         72
        .size:           8
        .value_kind:     global_buffer
      - .offset:         80
        .size:           4
        .value_kind:     by_value
      - .address_space:  global
        .offset:         88
        .size:           8
        .value_kind:     global_buffer
      - .address_space:  global
        .offset:         96
        .size:           8
        .value_kind:     global_buffer
    .group_segment_fixed_size: 24576
    .kernarg_segment_align: 8
    .kernarg_segment_size: 104
    .language:       OpenCL C
    .language_version:
      - 2
      - 0
    .max_flat_workgroup_size: 256
    .name:           bluestein_single_back_len3072_dim1_sp_op_CI_CI
    .private_segment_fixed_size: 0
    .sgpr_count:     24
    .sgpr_spill_count: 0
    .symbol:         bluestein_single_back_len3072_dim1_sp_op_CI_CI.kd
    .uniform_work_group_size: 1
    .uses_dynamic_stack: false
    .vgpr_count:     165
    .vgpr_spill_count: 0
    .wavefront_size: 64
amdhsa.target:   amdgcn-amd-amdhsa--gfx906
amdhsa.version:
  - 1
  - 2
...

	.end_amdgpu_metadata
